;; amdgpu-corpus repo=ROCm/aiter kind=harvested arch=n/a opt=n/a

/root/src/amdgpu-assembly/repos/ROCm__aiter/hsa/gfx950/mla/mla_a8w8_qh16_qseqlen4_gqaratio16.co:	file format elf64-amdgpu

Disassembly of section .text:

0000000000002400 <_ZN5aiter33mla_a8w8_qh16_qseqlen4_gqaratio16E>:
	s_and_b32 s1, s1, 0xffff                                   // 000000002400: 8601FF01 0000FFFF
	s_load_dwordx2 s[8:9], s[0:1], 0x0                         // 000000002408: C0060200 00000000
	s_load_dwordx2 s[12:13], s[0:1], 0x10                      // 000000002410: C0060300 00000010
	s_load_dwordx2 s[16:17], s[0:1], 0x20                      // 000000002418: C0060400 00000020
	s_load_dwordx2 s[20:21], s[0:1], 0x30                      // 000000002420: C0060500 00000030
	s_load_dwordx2 s[28:29], s[0:1], 0x40                      // 000000002428: C0060700 00000040
	s_load_dwordx2 s[24:25], s[0:1], 0x50                      // 000000002430: C0060600 00000050
	s_load_dwordx2 s[30:31], s[0:1], 0x60                      // 000000002438: C0060780 00000060
	s_load_dword s64, s[0:1], 0x70                             // 000000002440: C0021000 00000070
	s_load_dword s65, s[0:1], 0x80                             // 000000002448: C0021040 00000080
	s_load_dword s92, s[0:1], 0x90                             // 000000002450: C0021700 00000090
	s_load_dword s66, s[0:1], 0xa0                             // 000000002458: C0021080 000000A0
	s_load_dword s68, s[0:1], 0xb0                             // 000000002460: C0021100 000000B0
	s_load_dword s69, s[0:1], 0xc0                             // 000000002468: C0021140 000000C0
	s_load_dwordx2 s[32:33], s[0:1], 0xd0                      // 000000002470: C0060800 000000D0
	s_load_dwordx2 s[88:89], s[0:1], 0xe0                      // 000000002478: C0061600 000000E0
	s_load_dwordx2 s[40:41], s[0:1], 0x100                     // 000000002480: C0060A00 00000100
	s_load_dwordx2 s[42:43], s[0:1], 0x110                     // 000000002488: C0060A80 00000110
	s_load_dword s62, s[0:1], 0x120                            // 000000002490: C0020F80 00000120
	v_lshrrev_b32_e32 v1, 10, v0                               // 000000002498: 2002008A
	v_lshrrev_b32_e32 v2, 10, v1                               // 00000000249C: 2004028A
	v_and_b32_e32 v2, 0x3ff, v2                                // 0000000024A0: 260404FF 000003FF
	v_and_b32_e32 v1, 0x3ff, v1                                // 0000000024A8: 260202FF 000003FF
	v_and_b32_e32 v0, 0x3ff, v0                                // 0000000024B0: 260000FF 000003FF
	v_lshrrev_b32_e32 v3, 6, v0                                // 0000000024B8: 20060086
	v_and_b32_e32 v0, 63, v0                                   // 0000000024BC: 260000BF
	s_mov_b32 s2, s2                                           // 0000000024C0: BE820002
	s_mov_b32 s3, s3                                           // 0000000024C4: BE830003
	s_mov_b32 s4, s4                                           // 0000000024C8: BE840004
	v_readfirstlane_b32 s7, v3                                 // 0000000024CC: 7E0E0503
	s_waitcnt lgkmcnt(0)                                       // 0000000024D0: BF8CC07F
	s_min_u32 s76, 16, s65                                     // 0000000024D4: 83CC4190
	s_mul_i32 s56, s3, 4                                       // 0000000024D8: 92388403
	s_and_b32 s29, s29, 0xffff                                 // 0000000024DC: 861DFF1D 0000FFFF
	s_and_b32 s31, s31, 0xffff                                 // 0000000024E4: 861FFF1F 0000FFFF
	s_add_u32 s28, s56, s28                                    // 0000000024EC: 801C1C38
	s_addc_u32 s29, 0, s29                                     // 0000000024F0: 821D1D80
	s_load_dword s47, s[28:29], 0x0                            // 0000000024F4: C0020BCE 00000000
	s_load_dword s46, s[28:29], 0x4                            // 0000000024FC: C0020B8E 00000004
	s_mul_i32 s56, s3, 4                                       // 000000002504: 92388403
	s_and_b32 s89, s89, 0xffff                                 // 000000002508: 8659FF59 0000FFFF
	s_add_u32 s88, s56, s88                                    // 000000002510: 80585838
	s_addc_u32 s89, 0, s89                                     // 000000002514: 82595980
	s_load_dword s86, s[88:89], 0x0                            // 000000002518: C00215AC 00000000
	s_load_dword s85, s[88:89], 0x4                            // 000000002520: C002156C 00000004
	s_and_b32 s33, s33, 0xffff                                 // 000000002528: 8621FF21 0000FFFF
	s_add_u32 s32, s56, s32                                    // 000000002530: 80202038
	s_addc_u32 s33, 0, s33                                     // 000000002534: 82212180
	s_load_dword s79, s[32:33], 0x0                            // 000000002538: C00213D0 00000000
	s_load_dword s78, s[32:33], 0x4                            // 000000002540: C0021390 00000004
	s_waitcnt lgkmcnt(0)                                       // 000000002548: BF8CC07F
	s_sub_u32 s87, s85, s86                                    // 00000000254C: 80D75655
	s_cmp_le_u32 s87, s4                                       // 000000002550: BF0B0457
	s_cbranch_scc1 label_7B58                                  // 000000002554: BF851DFE
	s_mov_b32 s67, s87                                         // 000000002558: BEC30057
	s_sub_u32 s81, s78, s79                                    // 00000000255C: 80D14F4E
	s_mul_i32 s56, 0x800, s65                                  // 000000002560: 923841FF 00000800
	s_mul_i32 s57, 0x400, s65                                  // 000000002568: 923941FF 00000400
	s_cmp_eq_u32 s67, 1                                        // 000000002570: BF068143
	s_cselect_b32 s75, s57, s56                                // 000000002574: 854B3839
	s_mul_i32 s74, 0x240, s65                                  // 000000002578: 924A41FF 00000240
	s_mul_i32 s56, 4, s65                                      // 000000002580: 92384184
	s_mov_b32 s10, s75                                         // 000000002584: BE8A004B
	s_mov_b32 s18, s74                                         // 000000002588: BE92004A
	s_mov_b32 s14, s56                                         // 00000000258C: BE8E0038
	s_mov_b32 s22, -16                                         // 000000002590: BE9600D0
	s_mov_b32 s26, -16                                         // 000000002594: BE9A00D0
	s_mov_b32 s11, 0x20000                                     // 000000002598: BE8B00FF 00020000
	s_mov_b32 s19, 0x20000                                     // 0000000025A0: BE9300FF 00020000
	s_mov_b32 s15, 0x20000                                     // 0000000025A8: BE8F00FF 00020000
	s_mov_b32 s23, 0x20000                                     // 0000000025B0: BE9700FF 00020000
	s_mov_b32 s27, 0x20000                                     // 0000000025B8: BE9B00FF 00020000
	s_and_b32 s9, s9, 0xffff                                   // 0000000025C0: 8609FF09 0000FFFF
	s_and_b32 s17, s17, 0xffff                                 // 0000000025C8: 8611FF11 0000FFFF
	s_and_b32 s13, s13, 0xffff                                 // 0000000025D0: 860DFF0D 0000FFFF
	s_and_b32 s21, s21, 0xffff                                 // 0000000025D8: 8615FF15 0000FFFF
	s_and_b32 s25, s25, 0xffff                                 // 0000000025E0: 8619FF19 0000FFFF
	s_and_b32 s41, s41, 0xffff                                 // 0000000025E8: 8629FF29 0000FFFF
	s_and_b32 s43, s43, 0xffff                                 // 0000000025F0: 862BFF2B 0000FFFF
	s_or_b32 s9, s9, 0x40000                                   // 0000000025F8: 8709FF09 00040000
	s_or_b32 s17, s17, 0x40000                                 // 000000002600: 8711FF11 00040000
	s_or_b32 s13, s13, 0x40000                                 // 000000002608: 870DFF0D 00040000
	s_or_b32 s21, s21, 0x40000                                 // 000000002610: 8715FF15 00040000
	s_or_b32 s25, s25, 0x40000                                 // 000000002618: 8719FF19 00040000
	s_waitcnt lgkmcnt(0)                                       // 000000002620: BF8CC07F
	s_load_dword s60, s[40:41], 0x0                            // 000000002624: C0020F14 00000000
	s_load_dword s61, s[42:43], 0x0                            // 00000000262C: C0020F55 00000000
	s_mov_b32 s69, 0                                           // 000000002634: BEC50080
	s_lshr_b32 s44, 64, s69                                    // 000000002638: 8F2C45C0
	s_mul_i32 s73, s44, 4                                      // 00000000263C: 9249842C
	s_mul_i32 s73, s73, s67                                    // 000000002640: 92494349
	s_mul_i32 s45, s4, s44                                     // 000000002644: 922D2C04
	s_sub_u32 s50, s46, s47                                    // 000000002648: 80B22F2E
	s_sub_u32 s82, s50, s81                                    // 00000000264C: 80D25132
	s_mov_b32 s83, 63                                          // 000000002650: BED300BF
	s_add_u32 s83, s83, s45                                    // 000000002654: 80532D53
	s_mul_i32 s84, s67, 64                                     // 000000002658: 9254C043
	s_cmp_le_u32 s50, s45                                      // 00000000265C: BF0B2D32
	s_cbranch_scc1 label_7B58                                  // 000000002660: BF851DBB
	s_mul_i32 s56, s50, 4                                      // 000000002664: 92388432
	s_mov_b32 s26, s56                                         // 000000002668: BE9A0038
	s_mul_i32 s56, s47, 4                                      // 00000000266C: 9238842F
	s_add_u32 s24, s56, s24                                    // 000000002670: 80181838
	s_addc_u32 s25, 0, s25                                     // 000000002674: 82191980
	s_mov_b32 s70, 0                                           // 000000002678: BEC60080
	s_sub_u32 s71, s50, s45                                    // 00000000267C: 80C72D32
	s_mul_i32 s37, s67, s44                                    // 000000002680: 92252C43
	s_mov_b32 s36, s71                                         // 000000002684: BEA40047
	v_cvt_f32_u32_e32 v27, s37                                 // 000000002688: 7E360C25
	s_sub_i32 s56, 0, s37                                      // 00000000268C: 81B82580
	v_rcp_iflag_f32_e32 v27, v27                               // 000000002690: 7E36471B
	s_nop 0                                                    // 000000002694: BF800000
	v_mul_f32_e32 v27, 0x4f7ffffe, v27                         // 000000002698: 0A3636FF 4F7FFFFE
	v_cvt_u32_f32_e32 v27, v27                                 // 0000000026A0: 7E360F1B
	v_mul_lo_u32 v28, s56, v27                                 // 0000000026A4: D285001C 00023638
	v_mul_hi_u32 v28, v27, v28                                 // 0000000026AC: D286001C 0002391B
	v_add_u32_e32 v27, v27, v28                                // 0000000026B4: 6836391B
	v_mul_hi_u32 v27, s36, v27                                 // 0000000026B8: D286001B 00023624
	v_mul_lo_u32 v28, v27, s37                                 // 0000000026C0: D285001C 00004B1B
	v_sub_u32_e32 v30, s36, v28                                // 0000000026C8: 6A3C3824
	v_add_u32_e32 v29, 1, v27                                  // 0000000026CC: 683A3681
	v_cmp_le_u32_e32 vcc, s37, v30                             // 0000000026D0: 7D963C25
	v_subrev_u32_e32 v28, s37, v30                             // 0000000026D4: 6C383C25
	s_nop 0                                                    // 0000000026D8: BF800000
	v_cndmask_b32_e32 v27, v27, v29, vcc                       // 0000000026DC: 00363B1B
	v_cndmask_b32_e32 v30, v30, v28, vcc                       // 0000000026E0: 003C391E
	v_add_u32_e32 v28, 1, v27                                  // 0000000026E4: 68383681
	v_cmp_le_u32_e32 vcc, s37, v30                             // 0000000026E8: 7D963C25
	s_nop 1                                                    // 0000000026EC: BF800001
	v_cndmask_b32_e32 v30, v27, v28, vcc                       // 0000000026F0: 003C391B
	s_nop 3                                                    // 0000000026F4: BF800003
	v_readfirstlane_b32 s38, v30                               // 0000000026F8: 7E4C051E
	s_nop 3                                                    // 0000000026FC: BF800003
	s_mov_b32 s71, s38                                         // 000000002700: BEC70026
	s_mul_i32 s56, s71, s37                                    // 000000002704: 92382547
	s_sub_u32 s56, s36, s56                                    // 000000002708: 80B83824
	s_mov_b32 s57, 0                                           // 00000000270C: BEB90080
	s_cmp_lt_u32 s56, s44                                      // 000000002710: BF0A2C38
	s_cselect_b32 s57, s57, 1                                  // 000000002714: 85398139
	s_add_u32 s71, s57, s71                                    // 000000002718: 80474739
	s_cmpk_eq_u32 s57, 0x1                                     // 00000000271C: B4390001
	s_cselect_b32 s49, 0, s56                                  // 000000002720: 85313880
	s_mov_b32 s48, s49                                         // 000000002724: BEB00031
	v_lshrrev_b32_e32 v27, 2, v0                               // 000000002728: 20360082
	s_mul_i32 s56, s7, 16                                      // 00000000272C: 92389007
	v_add_u32_e64 v26, v27, s56                                // 000000002730: D134001A 0000711B
	v_add_u32_e32 v26, s45, v26                                // 000000002738: 6834342D
	v_lshlrev_b32_e32 v26, 2, v26                              // 00000000273C: 24343482
	buffer_load_dword v23, v26, s[24:27], 0 offen              // 000000002740: E0501000 8006171A
	v_add_u32_e32 v26, s73, v26                                // 000000002748: 68343449
	buffer_load_dword v24, v26, s[24:27], 0 offen              // 00000000274C: E0501000 8006181A
	v_add_u32_e32 v26, s73, v26                                // 000000002754: 68343449
	s_mul_i32 s56, 0x240, 16                                   // 000000002758: 923890FF 00000240
	s_mul_i32 s56, s79, s56                                    // 000000002760: 9238384F
	s_add_u32 s16, s56, s16                                    // 000000002764: 80101038
	s_addc_u32 s17, 0, s17                                     // 000000002768: 82111180
	s_mul_i32 s56, s7, 0x400                                   // 00000000276C: 9238FF07 00000400
	s_add_u32 m0, 0, s56                                       // 000000002774: 807C3880
	v_and_b32_e32 v27, 3, v0                                   // 000000002778: 26360083
	v_mov_b32_e32 v28, 0                                       // 00000000277C: 7E380280
	s_mov_b32 s56, 0                                           // 000000002780: BEB80080
	s_mov_b32 s57, -1                                          // 000000002784: BEB900C1
	v_cndmask_b32_e64 v29, v28, v27, s[56:57]                  // 000000002788: D100001D 00E2371C
	s_nop 2                                                    // 000000002790: BF800002
	v_mov_b32_dpp v29, v29 quad_perm:[2,3,0,1] row_mask:0xf bank_mask:0xf// 000000002794: 7E3A02FA FF004E1D
	v_cndmask_b32_e64 v30, v27, v29, s[56:57]                  // 00000000279C: D100001E 00E23B1B
	v_lshlrev_b32_e32 v30, 4, v30                              // 0000000027A4: 243C3C84
	v_mov_b32_e32 v1, v30                                      // 0000000027A8: 7E02031E
	v_lshrrev_b32_e32 v27, 2, v0                               // 0000000027AC: 20360082
	s_mov_b32 s56, 0x240                                       // 0000000027B0: BEB800FF 00000240
	v_mul_i32_i24_e64 v27, v27, s56                            // 0000000027B8: D106001B 0000711B
	s_mul_i32 s56, s7, 64                                      // 0000000027C0: 9238C007
	v_add_u32_e32 v28, v27, v30                                // 0000000027C4: 68383D1B
	v_add_u32_e64 v28, v28, s56                                // 0000000027C8: D134001C 0000711C
	buffer_load_dwordx4 v28, s[16:19], 0 offen lds             // 0000000027D0: E05D1000 8004001C
	s_add_u32 m0, m0, 0x1000                                   // 0000000027D8: 807CFF7C 00001000
	v_add_u32_e32 v28, 0x100, v28                              // 0000000027E0: 683838FF 00000100
	buffer_load_dwordx4 v28, s[16:19], 0 offen lds             // 0000000027E8: E05D1000 8004001C
	s_add_u32 m0, m0, 0x1000                                   // 0000000027F0: 807CFF7C 00001000
	v_add_u32_e32 v28, 0x100, v28                              // 0000000027F8: 683838FF 00000100
	buffer_load_dwordx4 v28, s[16:19], 0 offen lds             // 000000002800: E05D1000 8004001C
	s_add_u32 m0, m0, 0x1000                                   // 000000002808: 807CFF7C 00001000
	v_add_u32_e32 v28, 0x100, v28                              // 000000002810: 683838FF 00000100
	v_add_u32_e32 v28, 0x2100, v28                             // 000000002818: 683838FF 00002100
	buffer_load_dwordx4 v28, s[16:19], 0 offen lds             // 000000002820: E05D1000 8004001C
	s_add_u32 m0, m0, 0x1000                                   // 000000002828: 807CFF7C 00001000
	v_add_u32_e32 v28, 0x100, v28                              // 000000002830: 683838FF 00000100
	buffer_load_dwordx4 v28, s[16:19], 0 offen lds             // 000000002838: E05D1000 8004001C
	s_add_u32 m0, m0, 0x1000                                   // 000000002840: 807CFF7C 00001000
	v_add_u32_e32 v28, 0x100, v28                              // 000000002848: 683838FF 00000100
	;; [unrolled: 3-line block ×3, first 2 shown]
	v_add_u32_e32 v28, 0x2100, v28                             // 000000002868: 683838FF 00002100
	buffer_load_dwordx4 v28, s[16:19], 0 offen lds             // 000000002870: E05D1000 8004001C
	s_add_u32 m0, m0, 0x1000                                   // 000000002878: 807CFF7C 00001000
	v_add_u32_e32 v28, 0x100, v28                              // 000000002880: 683838FF 00000100
	buffer_load_dwordx4 v28, s[16:19], 0 offen lds             // 000000002888: E05D1000 8004001C
	s_add_u32 m0, m0, 0x1000                                   // 000000002890: 807CFF7C 00001000
	v_add_u32_e32 v28, 0x100, v28                              // 000000002898: 683838FF 00000100
	buffer_load_dwordx4 v28, s[16:19], 0 offen lds             // 0000000028A0: E05D1000 8004001C
	s_add_u32 m0, m0, 0x1000                                   // 0000000028A8: 807CFF7C 00001000
	v_add_u32_e32 v28, 0x100, v28                              // 0000000028B0: 683838FF 00000100
	v_add_u32_e32 v28, 0x2100, v28                             // 0000000028B8: 683838FF 00002100
	buffer_load_dwordx4 v28, s[16:19], 0 offen lds             // 0000000028C0: E05D1000 8004001C
	s_add_u32 m0, m0, 0x1000                                   // 0000000028C8: 807CFF7C 00001000
	v_add_u32_e32 v28, 0x100, v28                              // 0000000028D0: 683838FF 00000100
	buffer_load_dwordx4 v28, s[16:19], 0 offen lds             // 0000000028D8: E05D1000 8004001C
	s_add_u32 m0, m0, 0x1000                                   // 0000000028E0: 807CFF7C 00001000
	v_add_u32_e32 v28, 0x100, v28                              // 0000000028E8: 683838FF 00000100
	buffer_load_dwordx4 v28, s[16:19], 0 offen lds             // 0000000028F0: E05D1000 8004001C
	s_add_u32 m0, m0, 0x1000                                   // 0000000028F8: 807CFF7C 00001000
	v_add_u32_e32 v28, 0x100, v28                              // 000000002900: 683838FF 00000100
	v_add_u32_e32 v28, 0x2100, v28                             // 000000002908: 683838FF 00002100
	s_mov_b32 s52, 0x7060302                                   // 000000002910: BEB400FF 07060302
	s_mov_b32 s53, 0x5040100                                   // 000000002918: BEB500FF 05040100
	s_mul_i32 s51, s7, 4                                       // 000000002920: 92338407
	s_mov_b32 s6, 0x3fb8aa3b                                   // 000000002924: BE8600FF 3FB8AA3B
	v_mov_b32_e32 v28, s6                                      // 00000000292C: 7E380206
	v_mov_b32_e32 v27, s64                                     // 000000002930: 7E360240
	v_mul_f32_e32 v27, s6, v27                                 // 000000002934: 0A363606
	v_rcp_f32_e32 v28, v28                                     // 000000002938: 7E38451C
	v_mov_b32_e32 v2, 0xff800000                               // 00000000293C: 7E0402FF FF800000
	v_mov_b32_e32 v18, 0                                       // 000000002944: 7E240280
	v_mov_b32_e32 v4, 0                                        // 000000002948: 7E080280
	v_readfirstlane_b32 s5, v27                                // 00000000294C: 7E0A051B
	v_readfirstlane_b32 s63, v28                               // 000000002950: 7E7E051C
	s_waitcnt lgkmcnt(0)                                       // 000000002954: BF8CC07F
	v_mov_b32_e32 v27, s60                                     // 000000002958: 7E36023C
	v_mul_f32_e32 v27, s61, v27                                // 00000000295C: 0A36363D
	v_mul_f32_e32 v28, s5, v27                                 // 000000002960: 0A383605
	v_mul_f32_e32 v30, s64, v27                                // 000000002964: 0A3C3640
	v_readfirstlane_b32 s5, v28                                // 000000002968: 7E0A051C
	v_readfirstlane_b32 s64, v30                               // 00000000296C: 7E80051E
	v_accvgpr_write_b32 a36, 0                                 // 000000002970: D3D94024 18000080
	v_accvgpr_write_b32 a37, 0                                 // 000000002978: D3D94025 18000080
	v_accvgpr_write_b32 a38, 0                                 // 000000002980: D3D94026 18000080
	v_accvgpr_write_b32 a39, 0                                 // 000000002988: D3D94027 18000080
	v_accvgpr_write_b32 a76, 0                                 // 000000002990: D3D9404C 18000080
	v_accvgpr_write_b32 a77, 0                                 // 000000002998: D3D9404D 18000080
	v_accvgpr_write_b32 a78, 0                                 // 0000000029A0: D3D9404E 18000080
	v_accvgpr_write_b32 a79, 0                                 // 0000000029A8: D3D9404F 18000080
	v_accvgpr_write_b32 a116, 0                                // 0000000029B0: D3D94074 18000080
	v_accvgpr_write_b32 a117, 0                                // 0000000029B8: D3D94075 18000080
	v_accvgpr_write_b32 a118, 0                                // 0000000029C0: D3D94076 18000080
	v_accvgpr_write_b32 a119, 0                                // 0000000029C8: D3D94077 18000080
	v_lshlrev_b32_e32 v32, 4, v0                               // 0000000029D0: 24400084
	s_mov_b32 s56, 0x400                                       // 0000000029D4: BEB800FF 00000400
	s_mul_i32 s56, s56, s7                                     // 0000000029DC: 92380738
	v_add_u32_e32 v32, s56, v32                                // 0000000029E0: 68404038
	s_lshr_b32 s56, s7, 1                                      // 0000000029E4: 8F388107
	s_mul_i32 s56, s56, 0x800                                  // 0000000029E8: 9238FF38 00000800
	v_lshlrev_b32_e32 v33, 4, v0                               // 0000000029F0: 24420084
	v_add_u32_e32 v33, s56, v33                                // 0000000029F4: 68424238
	v_and_b32_e32 v27, 15, v0                                  // 0000000029F8: 2636008F
	v_lshlrev_b32_e32 v34, 2, v27                              // 0000000029FC: 24443682
	s_mul_i32 s56, 64, s7                                      // 000000002A00: 923807C0
	v_add_u32_e32 v34, s56, v34                                // 000000002A04: 68444438
	v_and_b32_e32 v27, 31, v0                                  // 000000002A08: 2636009F
	v_lshlrev_b32_e32 v35, 2, v27                              // 000000002A0C: 24463682
	s_lshr_b32 s56, s7, 1                                      // 000000002A10: 8F388107
	s_mul_i32 s56, 0x80, s56                                   // 000000002A14: 923838FF 00000080
	v_add_u32_e32 v35, s56, v35                                // 000000002A1C: 68464638
	s_waitcnt vmcnt(12)                                        // 000000002A20: BF8C0F7C
	v_mul_u32_u24_e64 v30, v23, s68                            // 000000002A24: D108001E 00008917
	v_add_u32_e32 v30, v30, v1                                 // 000000002A2C: 683C031E
	s_mov_b32 s56, 0x14000                                     // 000000002A30: BEB800FF 00014000
	s_mul_i32 s57, s7, 0x2400                                  // 000000002A38: 9239FF07 00002400
	s_add_u32 m0, s56, s57                                     // 000000002A40: 807C3938
	buffer_load_dwordx4 v30, s[20:23], 0 offen lds             // 000000002A44: E05D1000 8005001E
	s_add_i32 m0, m0, 0x3c0                                    // 000000002A4C: 817CFF7C 000003C0
	buffer_load_dwordx4 v30, s[20:23], 0 offen offset:64 lds   // 000000002A54: E05D1040 8005001E
	s_add_i32 m0, m0, 0x3c0                                    // 000000002A5C: 817CFF7C 000003C0
	buffer_load_dwordx4 v30, s[20:23], 0 offen offset:128 lds  // 000000002A64: E05D1080 8005001E
	s_add_i32 m0, m0, 0x3c0                                    // 000000002A6C: 817CFF7C 000003C0
	buffer_load_dwordx4 v30, s[20:23], 0 offen offset:192 lds  // 000000002A74: E05D10C0 8005001E
	s_add_i32 m0, m0, 0x3c0                                    // 000000002A7C: 817CFF7C 000003C0
	buffer_load_dwordx4 v30, s[20:23], 0 offen offset:256 lds  // 000000002A84: E05D1100 8005001E
	s_add_i32 m0, m0, 0x3c0                                    // 000000002A8C: 817CFF7C 000003C0
	buffer_load_dwordx4 v30, s[20:23], 0 offen offset:320 lds  // 000000002A94: E05D1140 8005001E
	s_add_i32 m0, m0, 0x3c0                                    // 000000002A9C: 817CFF7C 000003C0
	buffer_load_dwordx4 v30, s[20:23], 0 offen offset:384 lds  // 000000002AA4: E05D1180 8005001E
	s_add_i32 m0, m0, 0x3c0                                    // 000000002AAC: 817CFF7C 000003C0
	buffer_load_dwordx4 v30, s[20:23], 0 offen offset:448 lds  // 000000002AB4: E05D11C0 8005001E
	s_add_i32 m0, m0, 0x3c0                                    // 000000002ABC: 817CFF7C 000003C0
	buffer_load_dwordx4 v30, s[20:23], 0 offen offset:512 lds  // 000000002AC4: E05D1200 8005001E
	s_add_i32 m0, m0, 0x3c0                                    // 000000002ACC: 817CFF7C 000003C0
	buffer_load_dword v25, v26, s[24:27], 0 offen              // 000000002AD4: E0501000 8006191A
	v_add_u32_e32 v26, s73, v26                                // 000000002ADC: 68343449
	v_lshrrev_b32_e32 v27, 4, v0                               // 000000002AE0: 20360084
	v_lshlrev_b32_e32 v27, 2, v27                              // 000000002AE4: 24363682
	v_sub_u32_e32 v28, 12, v27                                 // 000000002AE8: 6A38368C
	v_mov_b32_e32 v29, v28                                     // 000000002AEC: 7E3A031C
	s_nop 1                                                    // 000000002AF0: BF800001
	v_permlane16_swap_b32_e32 v28, v29                         // 000000002AF4: 7E38B31D
	s_nop 1                                                    // 000000002AF8: BF800001
	v_permlane16_swap_b32_e32 v29, v28                         // 000000002AFC: 7E3AB31C
	s_mov_b32 s56, 0xff00ff00                                  // 000000002B00: BEB800FF FF00FF00
	s_mov_b32 s57, 0xff00ff00                                  // 000000002B08: BEB900FF FF00FF00
	v_cndmask_b32_e64 v29, v27, v28, s[56:57]                  // 000000002B10: D100001D 00E2391B
	v_and_b32_e32 v27, 15, v0                                  // 000000002B18: 2636008F
	v_lshlrev_b32_e32 v27, 4, v27                              // 000000002B1C: 24363684
	v_add_u32_e32 v4, v27, v29                                 // 000000002B20: 68083B1B
	v_lshlrev_b32_e32 v4, 2, v4                                // 000000002B24: 24080882
	s_mul_i32 s56, s7, 0x3000                                  // 000000002B28: 9238FF07 00003000
	v_add_u32_e32 v4, s56, v4                                  // 000000002B30: 68080838
	s_waitcnt vmcnt(10)                                        // 000000002B34: BF8C0F7A
	s_barrier                                                  // 000000002B38: BF8A0000
	ds_read_b128 a[0:3], v4                                    // 000000002B3C: DBFE0000 00000004
	ds_read_b128 a[4:7], v4 offset:1024                        // 000000002B44: DBFE0400 04000004
	ds_read_b128 a[8:11], v4 offset:2048                       // 000000002B4C: DBFE0800 08000004
	ds_read_b128 a[12:15], v4 offset:3072                      // 000000002B54: DBFE0C00 0C000004
	ds_read_b128 a[16:19], v4 offset:4096                      // 000000002B5C: DBFE1000 10000004
	ds_read_b128 a[20:23], v4 offset:5120                      // 000000002B64: DBFE1400 14000004
	ds_read_b128 a[24:27], v4 offset:6144                      // 000000002B6C: DBFE1800 18000004
	ds_read_b128 a[28:31], v4 offset:7168                      // 000000002B74: DBFE1C00 1C000004
	ds_read_b128 a[32:35], v4 offset:8192                      // 000000002B7C: DBFE2000 20000004
	v_mov_b32_e32 v52, 0                                       // 000000002B84: 7E680280
	v_mov_b32_e32 v53, 0                                       // 000000002B88: 7E6A0280
	v_mov_b32_e32 v54, 0                                       // 000000002B8C: 7E6C0280
	v_mov_b32_e32 v55, 0                                       // 000000002B90: 7E6E0280
	v_mov_b32_e32 v56, 0                                       // 000000002B94: 7E700280
	v_mov_b32_e32 v57, 0                                       // 000000002B98: 7E720280
	v_mov_b32_e32 v58, 0                                       // 000000002B9C: 7E740280
	v_mov_b32_e32 v59, 0                                       // 000000002BA0: 7E760280
	v_mov_b32_e32 v60, 0                                       // 000000002BA4: 7E780280
	v_mov_b32_e32 v61, 0                                       // 000000002BA8: 7E7A0280
	v_mov_b32_e32 v62, 0                                       // 000000002BAC: 7E7C0280
	v_mov_b32_e32 v63, 0                                       // 000000002BB0: 7E7E0280
	v_mov_b32_e32 v64, 0                                       // 000000002BB4: 7E800280
	v_mov_b32_e32 v65, 0                                       // 000000002BB8: 7E820280
	v_mov_b32_e32 v66, 0                                       // 000000002BBC: 7E840280
	v_mov_b32_e32 v67, 0                                       // 000000002BC0: 7E860280
	v_mov_b32_e32 v68, 0                                       // 000000002BC4: 7E880280
	v_mov_b32_e32 v69, 0                                       // 000000002BC8: 7E8A0280
	v_mov_b32_e32 v70, 0                                       // 000000002BCC: 7E8C0280
	v_mov_b32_e32 v71, 0                                       // 000000002BD0: 7E8E0280
	v_mov_b32_e32 v72, 0                                       // 000000002BD4: 7E900280
	v_mov_b32_e32 v73, 0                                       // 000000002BD8: 7E920280
	v_mov_b32_e32 v74, 0                                       // 000000002BDC: 7E940280
	v_mov_b32_e32 v75, 0                                       // 000000002BE0: 7E960280
	v_mov_b32_e32 v76, 0                                       // 000000002BE4: 7E980280
	v_mov_b32_e32 v77, 0                                       // 000000002BE8: 7E9A0280
	v_mov_b32_e32 v78, 0                                       // 000000002BEC: 7E9C0280
	v_mov_b32_e32 v79, 0                                       // 000000002BF0: 7E9E0280
	v_mov_b32_e32 v80, 0                                       // 000000002BF4: 7EA00280
	v_mov_b32_e32 v81, 0                                       // 000000002BF8: 7EA20280
	v_mov_b32_e32 v82, 0                                       // 000000002BFC: 7EA40280
	v_mov_b32_e32 v83, 0                                       // 000000002C00: 7EA60280
	v_mov_b32_e32 v84, 0                                       // 000000002C04: 7EA80280
	v_mov_b32_e32 v85, 0                                       // 000000002C08: 7EAA0280
	v_mov_b32_e32 v86, 0                                       // 000000002C0C: 7EAC0280
	v_mov_b32_e32 v87, 0                                       // 000000002C10: 7EAE0280
	v_mov_b32_e32 v88, 0                                       // 000000002C14: 7EB00280
	v_mov_b32_e32 v89, 0                                       // 000000002C18: 7EB20280
	v_mov_b32_e32 v90, 0                                       // 000000002C1C: 7EB40280
	v_mov_b32_e32 v91, 0                                       // 000000002C20: 7EB60280
	v_mov_b32_e32 v92, 0                                       // 000000002C24: 7EB80280
	v_mov_b32_e32 v93, 0                                       // 000000002C28: 7EBA0280
	v_mov_b32_e32 v94, 0                                       // 000000002C2C: 7EBC0280
	v_mov_b32_e32 v95, 0                                       // 000000002C30: 7EBE0280
	v_mov_b32_e32 v96, 0                                       // 000000002C34: 7EC00280
	v_mov_b32_e32 v97, 0                                       // 000000002C38: 7EC20280
	v_mov_b32_e32 v98, 0                                       // 000000002C3C: 7EC40280
	v_mov_b32_e32 v99, 0                                       // 000000002C40: 7EC60280
	v_mov_b32_e32 v100, 0                                      // 000000002C44: 7EC80280
	v_mov_b32_e32 v101, 0                                      // 000000002C48: 7ECA0280
	v_mov_b32_e32 v102, 0                                      // 000000002C4C: 7ECC0280
	v_mov_b32_e32 v103, 0                                      // 000000002C50: 7ECE0280
	v_mov_b32_e32 v104, 0                                      // 000000002C54: 7ED00280
	v_mov_b32_e32 v105, 0                                      // 000000002C58: 7ED20280
	v_mov_b32_e32 v106, 0                                      // 000000002C5C: 7ED40280
	v_mov_b32_e32 v107, 0                                      // 000000002C60: 7ED60280
	v_mov_b32_e32 v108, 0                                      // 000000002C64: 7ED80280
	v_mov_b32_e32 v109, 0                                      // 000000002C68: 7EDA0280
	v_mov_b32_e32 v110, 0                                      // 000000002C6C: 7EDC0280
	v_mov_b32_e32 v111, 0                                      // 000000002C70: 7EDE0280
	v_mov_b32_e32 v112, 0                                      // 000000002C74: 7EE00280
	v_mov_b32_e32 v113, 0                                      // 000000002C78: 7EE20280
	v_mov_b32_e32 v114, 0                                      // 000000002C7C: 7EE40280
	v_mov_b32_e32 v115, 0                                      // 000000002C80: 7EE60280
	v_mov_b32_e32 v116, 0                                      // 000000002C84: 7EE80280
	v_mov_b32_e32 v117, 0                                      // 000000002C88: 7EEA0280
	v_mov_b32_e32 v118, 0                                      // 000000002C8C: 7EEC0280
	v_mov_b32_e32 v119, 0                                      // 000000002C90: 7EEE0280
	v_mov_b32_e32 v120, 0                                      // 000000002C94: 7EF00280
	v_mov_b32_e32 v121, 0                                      // 000000002C98: 7EF20280
	v_mov_b32_e32 v122, 0                                      // 000000002C9C: 7EF40280
	v_mov_b32_e32 v123, 0                                      // 000000002CA0: 7EF60280
	v_mov_b32_e32 v124, 0                                      // 000000002CA4: 7EF80280
	v_mov_b32_e32 v125, 0                                      // 000000002CA8: 7EFA0280
	v_mov_b32_e32 v126, 0                                      // 000000002CAC: 7EFC0280
	v_mov_b32_e32 v127, 0                                      // 000000002CB0: 7EFE0280
	v_mov_b32_e32 v128, 0                                      // 000000002CB4: 7F000280
	v_mov_b32_e32 v129, 0                                      // 000000002CB8: 7F020280
	v_mov_b32_e32 v130, 0                                      // 000000002CBC: 7F040280
	v_mov_b32_e32 v131, 0                                      // 000000002CC0: 7F060280
	v_mov_b32_e32 v132, 0                                      // 000000002CC4: 7F080280
	v_mov_b32_e32 v133, 0                                      // 000000002CC8: 7F0A0280
	v_mov_b32_e32 v134, 0                                      // 000000002CCC: 7F0C0280
	v_mov_b32_e32 v135, 0                                      // 000000002CD0: 7F0E0280
	v_mov_b32_e32 v136, 0                                      // 000000002CD4: 7F100280
	v_mov_b32_e32 v137, 0                                      // 000000002CD8: 7F120280
	v_mov_b32_e32 v138, 0                                      // 000000002CDC: 7F140280
	v_mov_b32_e32 v139, 0                                      // 000000002CE0: 7F160280
	v_mov_b32_e32 v140, 0                                      // 000000002CE4: 7F180280
	v_mov_b32_e32 v141, 0                                      // 000000002CE8: 7F1A0280
	v_mov_b32_e32 v142, 0                                      // 000000002CEC: 7F1C0280
	v_mov_b32_e32 v143, 0                                      // 000000002CF0: 7F1E0280
	v_mov_b32_e32 v144, 0                                      // 000000002CF4: 7F200280
	v_mov_b32_e32 v145, 0                                      // 000000002CF8: 7F220280
	v_mov_b32_e32 v146, 0                                      // 000000002CFC: 7F240280
	v_mov_b32_e32 v147, 0                                      // 000000002D00: 7F260280
	v_mov_b32_e32 v148, 0                                      // 000000002D04: 7F280280
	v_mov_b32_e32 v149, 0                                      // 000000002D08: 7F2A0280
	v_mov_b32_e32 v150, 0                                      // 000000002D0C: 7F2C0280
	v_mov_b32_e32 v151, 0                                      // 000000002D10: 7F2E0280
	v_mov_b32_e32 v152, 0                                      // 000000002D14: 7F300280
	v_mov_b32_e32 v153, 0                                      // 000000002D18: 7F320280
	v_mov_b32_e32 v154, 0                                      // 000000002D1C: 7F340280
	v_mov_b32_e32 v155, 0                                      // 000000002D20: 7F360280
	v_mov_b32_e32 v156, 0                                      // 000000002D24: 7F380280
	v_mov_b32_e32 v157, 0                                      // 000000002D28: 7F3A0280
	v_mov_b32_e32 v158, 0                                      // 000000002D2C: 7F3C0280
	v_mov_b32_e32 v159, 0                                      // 000000002D30: 7F3E0280
	v_mov_b32_e32 v160, 0                                      // 000000002D34: 7F400280
	v_mov_b32_e32 v161, 0                                      // 000000002D38: 7F420280
	v_mov_b32_e32 v162, 0                                      // 000000002D3C: 7F440280
	v_mov_b32_e32 v163, 0                                      // 000000002D40: 7F460280
	v_mov_b32_e32 v164, 0                                      // 000000002D44: 7F480280
	v_mov_b32_e32 v165, 0                                      // 000000002D48: 7F4A0280
	v_mov_b32_e32 v166, 0                                      // 000000002D4C: 7F4C0280
	v_mov_b32_e32 v167, 0                                      // 000000002D50: 7F4E0280
	v_mov_b32_e32 v168, 0                                      // 000000002D54: 7F500280
	v_mov_b32_e32 v169, 0                                      // 000000002D58: 7F520280
	v_mov_b32_e32 v170, 0                                      // 000000002D5C: 7F540280
	v_mov_b32_e32 v171, 0                                      // 000000002D60: 7F560280
	v_mov_b32_e32 v172, 0                                      // 000000002D64: 7F580280
	v_mov_b32_e32 v173, 0                                      // 000000002D68: 7F5A0280
	v_mov_b32_e32 v174, 0                                      // 000000002D6C: 7F5C0280
	v_mov_b32_e32 v175, 0                                      // 000000002D70: 7F5E0280
	v_mov_b32_e32 v176, 0                                      // 000000002D74: 7F600280
	v_mov_b32_e32 v177, 0                                      // 000000002D78: 7F620280
	v_mov_b32_e32 v178, 0                                      // 000000002D7C: 7F640280
	v_mov_b32_e32 v179, 0                                      // 000000002D80: 7F660280
	v_lshrrev_b32_e32 v27, 4, v0                               // 000000002D84: 20360084
	v_lshlrev_b32_e32 v27, 2, v27                              // 000000002D88: 24363682
	v_sub_u32_e32 v28, 12, v27                                 // 000000002D8C: 6A38368C
	v_mov_b32_e32 v29, v28                                     // 000000002D90: 7E3A031C
	s_nop 1                                                    // 000000002D94: BF800001
	v_permlane16_swap_b32_e32 v28, v29                         // 000000002D98: 7E38B31D
	s_nop 1                                                    // 000000002D9C: BF800001
	v_permlane16_swap_b32_e32 v29, v28                         // 000000002DA0: 7E3AB31C
	s_mov_b32 s56, 0xff00ff00                                  // 000000002DA4: BEB800FF FF00FF00
	s_mov_b32 s57, 0xff00ff00                                  // 000000002DAC: BEB900FF FF00FF00
	v_cndmask_b32_e64 v29, v27, v28, s[56:57]                  // 000000002DB4: D100001D 00E2391B
	v_and_b32_e32 v27, 15, v0                                  // 000000002DBC: 2636008F
	v_lshlrev_b32_e32 v27, 4, v27                              // 000000002DC0: 24363684
	v_add_u32_e32 v20, v27, v29                                // 000000002DC4: 68283B1B
	v_lshlrev_b32_e32 v21, 2, v20                              // 000000002DC8: 242A2882
	s_mov_b32 s56, 0xb000                                      // 000000002DCC: BEB800FF 0000B000
	v_add_u32_e32 v20, s56, v21                                // 000000002DD4: 68282A38
	s_mov_b32 s57, 0x9000                                      // 000000002DD8: BEB900FF 00009000
	v_add_u32_e32 v21, s57, v20                                // 000000002DE0: 682A2839
	v_add_u32_e32 v22, s57, v21                                // 000000002DE4: 682C2A39
	v_and_b32_e32 v27, 15, v0                                  // 000000002DE8: 2636008F
	v_lshrrev_b32_e32 v27, 1, v27                              // 000000002DEC: 20363681
	v_lshlrev_b32_e32 v27, 4, v27                              // 000000002DF0: 24363684
	v_and_b32_e32 v28, 1, v0                                   // 000000002DF4: 26380081
	v_lshlrev_b32_e32 v28, 1, v28                              // 000000002DF8: 24383881
	v_and_b32_e32 v29, 31, v0                                  // 000000002DFC: 263A009F
	v_lshrrev_b32_e32 v29, 4, v29                              // 000000002E00: 203A3A84
	v_lshlrev_b32_e32 v29, 2, v29                              // 000000002E04: 243A3A82
	v_lshrrev_b32_e32 v30, 5, v0                               // 000000002E08: 203C0085
	s_mov_b32 s56, 0x900                                       // 000000002E0C: BEB800FF 00000900
	v_mul_i32_i24_e32 v30, s56, v30                            // 000000002E14: 0C3C3C38
	v_add_u32_e32 v6, v27, v28                                 // 000000002E18: 680C391B
	v_add_u32_e32 v6, v29, v6                                  // 000000002E1C: 680C0D1D
	v_add_u32_e32 v6, v30, v6                                  // 000000002E20: 680C0D1E
	s_mov_b32 s56, 0x88                                        // 000000002E24: BEB800FF 00000088
	v_add_u32_e32 v7, s56, v6                                  // 000000002E2C: 680E0C38
	s_mov_b32 s56, 8                                           // 000000002E30: BEB80088
	v_add_u32_e32 v8, s56, v6                                  // 000000002E34: 68100C38
	s_mov_b32 s56, 0x80                                        // 000000002E38: BEB800FF 00000080
	v_add_u32_e32 v9, s56, v6                                  // 000000002E40: 68120C38
	s_and_b32 s56, 1, s7                                       // 000000002E44: 86380781
	s_mov_b32 s57, 0x400                                       // 000000002E48: BEB900FF 00000400
	s_mul_i32 s56, s57, s56                                    // 000000002E50: 92383839
	v_add_u32_e32 v6, s56, v6                                  // 000000002E54: 680C0C38
	v_add_u32_e32 v7, s56, v7                                  // 000000002E58: 680E0E38
	v_add_u32_e32 v8, s56, v8                                  // 000000002E5C: 68101038
	v_add_u32_e32 v9, s56, v9                                  // 000000002E60: 68121238
	v_lshlrev_b32_e32 v6, 2, v6                                // 000000002E64: 240C0C82
	v_lshlrev_b32_e32 v7, 2, v7                                // 000000002E68: 240E0E82
	v_lshlrev_b32_e32 v8, 2, v8                                // 000000002E6C: 24101082
	v_lshlrev_b32_e32 v9, 2, v9                                // 000000002E70: 24121282
	s_mov_b32 s56, 0xb000                                      // 000000002E74: BEB800FF 0000B000
	v_add_u32_e32 v6, s56, v6                                  // 000000002E7C: 680C0C38
	v_add_u32_e32 v7, s56, v7                                  // 000000002E80: 680E0E38
	v_add_u32_e32 v8, s56, v8                                  // 000000002E84: 68101038
	v_add_u32_e32 v9, s56, v9                                  // 000000002E88: 68121238
	s_mov_b32 s56, 0x9000                                      // 000000002E8C: BEB800FF 00009000
	v_add_u32_e32 v10, s56, v6                                 // 000000002E94: 68140C38
	v_add_u32_e32 v11, s56, v7                                 // 000000002E98: 68160E38
	v_add_u32_e32 v12, s56, v8                                 // 000000002E9C: 68181038
	v_add_u32_e32 v13, s56, v9                                 // 000000002EA0: 681A1238
	v_add_u32_e32 v14, s56, v10                                // 000000002EA4: 681C1438
	v_add_u32_e32 v15, s56, v11                                // 000000002EA8: 681E1638
	v_add_u32_e32 v16, s56, v12                                // 000000002EAC: 68201838
	v_add_u32_e32 v17, s56, v13                                // 000000002EB0: 68221A38
	v_mul_u32_u24_e64 v30, v24, s68                            // 000000002EB4: D108001E 00008918
	v_add_u32_e32 v30, v30, v1                                 // 000000002EBC: 683C031E
	s_mov_b32 s56, 0x1d000                                     // 000000002EC0: BEB800FF 0001D000
	s_mul_i32 s57, s7, 0x2400                                  // 000000002EC8: 9239FF07 00002400
	s_add_u32 m0, s56, s57                                     // 000000002ED0: 807C3938
	buffer_load_dwordx4 v30, s[20:23], 0 offen lds             // 000000002ED4: E05D1000 8005001E
	s_add_i32 m0, m0, 0x3c0                                    // 000000002EDC: 817CFF7C 000003C0
	buffer_load_dwordx4 v30, s[20:23], 0 offen offset:64 lds   // 000000002EE4: E05D1040 8005001E
	s_add_i32 m0, m0, 0x3c0                                    // 000000002EEC: 817CFF7C 000003C0
	buffer_load_dwordx4 v30, s[20:23], 0 offen offset:128 lds  // 000000002EF4: E05D1080 8005001E
	s_add_i32 m0, m0, 0x3c0                                    // 000000002EFC: 817CFF7C 000003C0
	buffer_load_dwordx4 v30, s[20:23], 0 offen offset:192 lds  // 000000002F04: E05D10C0 8005001E
	s_add_i32 m0, m0, 0x3c0                                    // 000000002F0C: 817CFF7C 000003C0
	buffer_load_dwordx4 v30, s[20:23], 0 offen offset:256 lds  // 000000002F14: E05D1100 8005001E
	s_add_i32 m0, m0, 0x3c0                                    // 000000002F1C: 817CFF7C 000003C0
	buffer_load_dwordx4 v30, s[20:23], 0 offen offset:320 lds  // 000000002F24: E05D1140 8005001E
	s_add_i32 m0, m0, 0x3c0                                    // 000000002F2C: 817CFF7C 000003C0
	buffer_load_dwordx4 v30, s[20:23], 0 offen offset:384 lds  // 000000002F34: E05D1180 8005001E
	s_add_i32 m0, m0, 0x3c0                                    // 000000002F3C: 817CFF7C 000003C0
	buffer_load_dwordx4 v30, s[20:23], 0 offen offset:448 lds  // 000000002F44: E05D11C0 8005001E
	s_add_i32 m0, m0, 0x3c0                                    // 000000002F4C: 817CFF7C 000003C0
	buffer_load_dwordx4 v30, s[20:23], 0 offen offset:512 lds  // 000000002F54: E05D1200 8005001E
	s_add_i32 m0, m0, 0x3c0                                    // 000000002F5C: 817CFF7C 000003C0
	buffer_load_dword v23, v26, s[24:27], 0 offen              // 000000002F64: E0501000 8006171A
	v_add_u32_e32 v26, s73, v26                                // 000000002F6C: 68343449
	s_waitcnt vmcnt(10)                                        // 000000002F70: BF8C0F7A
	s_barrier                                                  // 000000002F74: BF8A0000
	s_waitcnt lgkmcnt(0)                                       // 000000002F78: BF8CC07F
	ds_read_b128 a[40:43], v21                                 // 000000002F7C: DBFE0000 28000015
	ds_read_b128 a[44:47], v21 offset:1024                     // 000000002F84: DBFE0400 2C000015
	ds_read_b128 a[48:51], v21 offset:2048                     // 000000002F8C: DBFE0800 30000015
	ds_read_b128 a[52:55], v21 offset:3072                     // 000000002F94: DBFE0C00 34000015
	ds_read_b128 a[56:59], v21 offset:4096                     // 000000002F9C: DBFE1000 38000015
	ds_read_b128 a[60:63], v21 offset:5120                     // 000000002FA4: DBFE1400 3C000015
	ds_read_b128 a[64:67], v21 offset:6144                     // 000000002FAC: DBFE1800 40000015
	ds_read_b128 a[68:71], v21 offset:7168                     // 000000002FB4: DBFE1C00 44000015
	ds_read_b128 a[72:75], v21 offset:8192                     // 000000002FBC: DBFE2000 48000015
	ds_read_b128 a[80:83], v21 offset:9216                     // 000000002FC4: DBFE2400 50000015
	ds_read_b128 a[84:87], v21 offset:10240                    // 000000002FCC: DBFE2800 54000015
	ds_read_b128 a[88:91], v21 offset:11264                    // 000000002FD4: DBFE2C00 58000015
	ds_read_b128 a[92:95], v21 offset:12288                    // 000000002FDC: DBFE3000 5C000015
	ds_read_b128 a[96:99], v21 offset:13312                    // 000000002FE4: DBFE3400 60000015
	ds_read_b128 a[100:103], v21 offset:14336                  // 000000002FEC: DBFE3800 64000015
	ds_read_b128 a[104:107], v21 offset:15360                  // 000000002FF4: DBFE3C00 68000015
	ds_read_b128 a[108:111], v21 offset:16384                  // 000000002FFC: DBFE4000 6C000015
	ds_read_b128 a[112:115], v21 offset:17408                  // 000000003004: DBFE4400 70000015
	s_cmp_lt_u32 s71, 1                                        // 00000000300C: BF0A8147
	s_cbranch_scc1 label_4850                                  // 000000003010: BF850F0F
	s_cmp_lt_i32 s7, 2                                         // 000000003014: BF048207
	s_cbranch_scc0 label_2A38                                  // 000000003018: BF840787

000000000000301c <label_0C1C>:
	s_waitcnt lgkmcnt(4)                                       // 00000000301C: BF8CC47F
	v_mfma_f32_16x16x128_f8f6f4 v[36:39], a[40:47], a[0:7], 0  // 000000003020: D3AD0024 1A020128
	v_mul_u32_u24_e64 v30, v25, s68                            // 000000003028: D108001E 00008919
	v_add_u32_e32 v30, v30, v1                                 // 000000003030: 683C031E
	buffer_load_dword v24, v26, s[24:27], 0 offen              // 000000003034: E0501000 8006181A
	ds_read_b128 a[40:43], v21 offset:18432                    // 00000000303C: DBFE4800 28000015
	v_mfma_f32_16x16x128_f8f6f4 v[36:39], a[48:55], a[8:15], v[36:39]// 000000003044: D3AD0024 1C921130
	s_mov_b32 s56, 0xb000                                      // 00000000304C: BEB800FF 0000B000
	s_mul_i32 s57, s7, 0x2400                                  // 000000003054: 9239FF07 00002400
	s_add_u32 m0, s56, s57                                     // 00000000305C: 807C3938
	buffer_load_dwordx4 v30, s[20:23], 0 offen lds             // 000000003060: E05D1000 8005001E
	s_add_i32 m0, m0, 0x3c0                                    // 000000003068: 817CFF7C 000003C0
	v_mfma_f32_16x16x128_f8f6f4 v[36:39], a[56:63], a[16:23], v[36:39]// 000000003070: D3AD0024 1C922138
	ds_read_b128 a[44:47], v21 offset:19456                    // 000000003078: DBFE4C00 2C000015
	v_mfma_f32_16x16x128_f8f6f4 v[36:39], a[64:71], a[24:31], v[36:39]// 000000003080: D3AD0024 1C923140
	buffer_load_dwordx4 v30, s[20:23], 0 offen offset:64 lds   // 000000003088: E05D1040 8005001E
	s_add_i32 m0, m0, 0x3c0                                    // 000000003090: 817CFF7C 000003C0
	v_mfma_f32_16x16x128_f8f6f4 v[36:39], a[72:79], a[32:39], v[36:39]// 000000003098: D3AD0024 1C924148
	ds_read_b128 a[48:51], v21 offset:20480                    // 0000000030A0: DBFE5000 30000015
	v_mfma_f32_16x16x128_f8f6f4 v[40:43], a[80:87], a[0:7], 0  // 0000000030A8: D3AD0028 1A020150
	buffer_load_dwordx4 v30, s[20:23], 0 offen offset:128 lds  // 0000000030B0: E05D1080 8005001E
	s_add_i32 m0, m0, 0x3c0                                    // 0000000030B8: 817CFF7C 000003C0
	v_mfma_f32_16x16x128_f8f6f4 v[40:43], a[88:95], a[8:15], v[40:43]// 0000000030C0: D3AD0028 1CA21158
	ds_read_b128 a[52:55], v21 offset:21504                    // 0000000030C8: DBFE5400 34000015
	v_mfma_f32_16x16x128_f8f6f4 v[40:43], a[96:103], a[16:23], v[40:43]// 0000000030D0: D3AD0028 1CA22160
	buffer_load_dwordx4 v30, s[20:23], 0 offen offset:192 lds  // 0000000030D8: E05D10C0 8005001E
	s_add_i32 m0, m0, 0x3c0                                    // 0000000030E0: 817CFF7C 000003C0
	v_mfma_f32_16x16x128_f8f6f4 v[40:43], a[104:111], a[24:31], v[40:43]// 0000000030E8: D3AD0028 1CA23168
	ds_read_b128 a[56:59], v21 offset:22528                    // 0000000030F0: DBFE5800 38000015
	v_mfma_f32_16x16x128_f8f6f4 v[40:43], a[112:119], a[32:39], v[40:43]// 0000000030F8: D3AD0028 1CA24170
	buffer_load_dwordx4 v30, s[20:23], 0 offen offset:256 lds  // 000000003100: E05D1100 8005001E
	s_add_i32 m0, m0, 0x3c0                                    // 000000003108: 817CFF7C 000003C0
	buffer_load_dwordx4 v30, s[20:23], 0 offen offset:320 lds  // 000000003110: E05D1140 8005001E
	s_add_i32 m0, m0, 0x3c0                                    // 000000003118: 817CFF7C 000003C0
	buffer_load_dwordx4 v30, s[20:23], 0 offen offset:384 lds  // 000000003120: E05D1180 8005001E
	s_add_i32 m0, m0, 0x3c0                                    // 000000003128: 817CFF7C 000003C0
	buffer_load_dwordx4 v30, s[20:23], 0 offen offset:448 lds  // 000000003130: E05D11C0 8005001E
	s_add_i32 m0, m0, 0x3c0                                    // 000000003138: 817CFF7C 000003C0
	buffer_load_dwordx4 v30, s[20:23], 0 offen offset:512 lds  // 000000003140: E05D1200 8005001E
	s_add_i32 m0, m0, 0x3c0                                    // 000000003148: 817CFF7C 000003C0
	ds_read_b128 a[60:63], v21 offset:23552                    // 000000003150: DBFE5C00 3C000015
	ds_read_b128 a[64:67], v21 offset:24576                    // 000000003158: DBFE6000 40000015
	ds_read_b128 a[68:71], v21 offset:25600                    // 000000003160: DBFE6400 44000015
	ds_read_b128 a[72:75], v21 offset:26624                    // 000000003168: DBFE6800 48000015
	ds_read_b128 a[80:83], v21 offset:27648                    // 000000003170: DBFE6C00 50000015
	ds_read_b128 a[84:87], v21 offset:28672                    // 000000003178: DBFE7000 54000015
	ds_read_b128 a[88:91], v21 offset:29696                    // 000000003180: DBFE7400 58000015
	ds_read_b128 a[92:95], v21 offset:30720                    // 000000003188: DBFE7800 5C000015
	ds_read_b128 a[96:99], v21 offset:31744                    // 000000003190: DBFE7C00 60000015
	ds_read_b128 a[100:103], v21 offset:32768                  // 000000003198: DBFE8000 64000015
	ds_read_b128 a[104:107], v21 offset:33792                  // 0000000031A0: DBFE8400 68000015
	ds_read_b128 a[108:111], v21 offset:34816                  // 0000000031A8: DBFE8800 6C000015
	ds_read_b128 a[112:115], v21 offset:35840                  // 0000000031B0: DBFE8C00 70000015
	v_add_u32_e32 v26, s73, v26                                // 0000000031B8: 68343449
	s_waitcnt lgkmcnt(4)                                       // 0000000031BC: BF8CC47F
	v_mfma_f32_16x16x128_f8f6f4 v[44:47], a[40:47], a[0:7], 0  // 0000000031C0: D3AD002C 1A020128
	ds_read_b64_tr_b8 a[120:121], v10                          // 0000000031C8: DBC40000 7800000A
	ds_read_b64_tr_b8 a[122:123], v11                          // 0000000031D0: DBC40000 7A00000B
	ds_read_b64_tr_b8 a[124:125], v10 offset:18432             // 0000000031D8: DBC44800 7C00000A
	ds_read_b64_tr_b8 a[126:127], v11 offset:18432             // 0000000031E0: DBC44800 7E00000B
	v_mfma_f32_16x16x128_f8f6f4 v[44:47], a[48:55], a[8:15], v[44:47]// 0000000031E8: D3AD002C 1CB21130
	v_mfma_f32_16x16x128_f8f6f4 v[44:47], a[56:63], a[16:23], v[44:47]// 0000000031F0: D3AD002C 1CB22138
	ds_read_b64_tr_b8 a[128:129], v12                          // 0000000031F8: DBC40000 8000000C
	ds_read_b64_tr_b8 a[130:131], v13                          // 000000003200: DBC40000 8200000D
	ds_read_b64_tr_b8 a[132:133], v12 offset:18432             // 000000003208: DBC44800 8400000C
	ds_read_b64_tr_b8 a[134:135], v13 offset:18432             // 000000003210: DBC44800 8600000D
	v_mfma_f32_16x16x128_f8f6f4 v[44:47], a[64:71], a[24:31], v[44:47]// 000000003218: D3AD002C 1CB23140
	v_mfma_f32_16x16x128_f8f6f4 v[44:47], a[72:79], a[32:39], v[44:47]// 000000003220: D3AD002C 1CB24148
	ds_read_b64_tr_b8 a[136:137], v10 offset:1024              // 000000003228: DBC40400 8800000A
	ds_read_b64_tr_b8 a[138:139], v11 offset:1024              // 000000003230: DBC40400 8A00000B
	ds_read_b64_tr_b8 a[140:141], v10 offset:19456             // 000000003238: DBC44C00 8C00000A
	ds_read_b64_tr_b8 a[142:143], v11 offset:19456             // 000000003240: DBC44C00 8E00000B
	v_mfma_f32_16x16x128_f8f6f4 v[48:51], a[80:87], a[0:7], 0  // 000000003248: D3AD0030 1A020150
	v_mfma_f32_16x16x128_f8f6f4 v[48:51], a[88:95], a[8:15], v[48:51]// 000000003250: D3AD0030 1CC21158
	ds_read_b64_tr_b8 a[144:145], v12 offset:1024              // 000000003258: DBC40400 9000000C
	ds_read_b64_tr_b8 a[146:147], v13 offset:1024              // 000000003260: DBC40400 9200000D
	ds_read_b64_tr_b8 a[148:149], v12 offset:19456             // 000000003268: DBC44C00 9400000C
	ds_read_b64_tr_b8 a[150:151], v13 offset:19456             // 000000003270: DBC44C00 9600000D
	v_mfma_f32_16x16x128_f8f6f4 v[48:51], a[96:103], a[16:23], v[48:51]// 000000003278: D3AD0030 1CC22160
	v_mfma_f32_16x16x128_f8f6f4 v[48:51], a[104:111], a[24:31], v[48:51]// 000000003280: D3AD0030 1CC23168
	ds_read_b64_tr_b8 a[152:153], v10 offset:2048              // 000000003288: DBC40800 9800000A
	ds_read_b64_tr_b8 a[154:155], v11 offset:2048              // 000000003290: DBC40800 9A00000B
	ds_read_b64_tr_b8 a[156:157], v10 offset:20480             // 000000003298: DBC45000 9C00000A
	ds_read_b64_tr_b8 a[158:159], v11 offset:20480             // 0000000032A0: DBC45000 9E00000B
	v_mfma_f32_16x16x128_f8f6f4 v[48:51], a[112:119], a[32:39], v[48:51]// 0000000032A8: D3AD0030 1CC24170
	ds_read_b64_tr_b8 a[160:161], v12 offset:2048              // 0000000032B0: DBC40800 A000000C
	ds_read_b64_tr_b8 a[162:163], v13 offset:2048              // 0000000032B8: DBC40800 A200000D
	ds_read_b64_tr_b8 a[164:165], v12 offset:20480             // 0000000032C0: DBC45000 A400000C
	ds_read_b64_tr_b8 a[166:167], v13 offset:20480             // 0000000032C8: DBC45000 A600000D
	ds_read_b64_tr_b8 a[168:169], v10 offset:3072              // 0000000032D0: DBC40C00 A800000A
	ds_read_b64_tr_b8 a[170:171], v11 offset:3072              // 0000000032D8: DBC40C00 AA00000B
	ds_read_b64_tr_b8 a[172:173], v10 offset:21504             // 0000000032E0: DBC45400 AC00000A
	ds_read_b64_tr_b8 a[174:175], v11 offset:21504             // 0000000032E8: DBC45400 AE00000B
	ds_read_b64_tr_b8 a[176:177], v12 offset:3072              // 0000000032F0: DBC40C00 B000000C
	ds_read_b64_tr_b8 a[178:179], v13 offset:3072              // 0000000032F8: DBC40C00 B200000D
	ds_read_b64_tr_b8 a[180:181], v12 offset:21504             // 000000003300: DBC45400 B400000C
	ds_read_b64_tr_b8 a[182:183], v13 offset:21504             // 000000003308: DBC45400 B600000D
	s_cmp_le_i32 s83, s82                                      // 000000003310: BF055253
	s_cbranch_scc1 label_10C4                                  // 000000003314: BF85006B
	v_mov_b32_e32 v27, s82                                     // 000000003318: 7E360252
	v_add_u32_e32 v27, s7, v27                                 // 00000000331C: 68363607
	s_sub_u32 s56, s83, 63                                     // 000000003320: 80B8BF53
	v_lshrrev_b32_e32 v20, 4, v0                               // 000000003324: 20280084
	v_mul_i32_i24_e32 v20, 4, v20                              // 000000003328: 0C282884
	v_add_u32_e32 v20, s56, v20                                // 00000000332C: 68282838
	v_add_u32_e32 v21, 1, v20                                  // 000000003330: 682A2881
	v_add_u32_e32 v22, 2, v20                                  // 000000003334: 682C2882
	v_add_u32_e32 v23, 3, v20                                  // 000000003338: 682E2883
	v_mov_b32_e32 v28, 0xff800000                              // 00000000333C: 7E3802FF FF800000
	v_cmp_le_u32_e64 s[36:37], v20, v27                        // 000000003344: D0CB0024 00023714
	v_add_u32_e32 v20, 16, v20                                 // 00000000334C: 68282890
	s_nop 0                                                    // 000000003350: BF800000
	v_cndmask_b32_e64 v36, v28, v36, s[36:37]                  // 000000003354: D1000024 0092491C
	v_cmp_le_u32_e64 s[36:37], v21, v27                        // 00000000335C: D0CB0024 00023715
	v_add_u32_e32 v21, 16, v21                                 // 000000003364: 682A2A90
	s_nop 0                                                    // 000000003368: BF800000
	v_cndmask_b32_e64 v37, v28, v37, s[36:37]                  // 00000000336C: D1000025 00924B1C
	v_cmp_le_u32_e64 s[36:37], v22, v27                        // 000000003374: D0CB0024 00023716
	v_add_u32_e32 v22, 16, v22                                 // 00000000337C: 682C2C90
	s_nop 0                                                    // 000000003380: BF800000
	v_cndmask_b32_e64 v38, v28, v38, s[36:37]                  // 000000003384: D1000026 00924D1C
	v_cmp_le_u32_e64 s[36:37], v23, v27                        // 00000000338C: D0CB0024 00023717
	v_add_u32_e32 v23, 16, v23                                 // 000000003394: 682E2E90
	s_nop 0                                                    // 000000003398: BF800000
	v_cndmask_b32_e64 v39, v28, v39, s[36:37]                  // 00000000339C: D1000027 00924F1C
	v_cmp_le_u32_e64 s[36:37], v20, v27                        // 0000000033A4: D0CB0024 00023714
	v_add_u32_e32 v20, 16, v20                                 // 0000000033AC: 68282890
	s_nop 0                                                    // 0000000033B0: BF800000
	v_cndmask_b32_e64 v40, v28, v40, s[36:37]                  // 0000000033B4: D1000028 0092511C
	v_cmp_le_u32_e64 s[36:37], v21, v27                        // 0000000033BC: D0CB0024 00023715
	v_add_u32_e32 v21, 16, v21                                 // 0000000033C4: 682A2A90
	s_nop 0                                                    // 0000000033C8: BF800000
	v_cndmask_b32_e64 v41, v28, v41, s[36:37]                  // 0000000033CC: D1000029 0092531C
	v_cmp_le_u32_e64 s[36:37], v22, v27                        // 0000000033D4: D0CB0024 00023716
	v_add_u32_e32 v22, 16, v22                                 // 0000000033DC: 682C2C90
	s_nop 0                                                    // 0000000033E0: BF800000
	v_cndmask_b32_e64 v42, v28, v42, s[36:37]                  // 0000000033E4: D100002A 0092551C
	v_cmp_le_u32_e64 s[36:37], v23, v27                        // 0000000033EC: D0CB0024 00023717
	v_add_u32_e32 v23, 16, v23                                 // 0000000033F4: 682E2E90
	s_nop 0                                                    // 0000000033F8: BF800000
	v_cndmask_b32_e64 v43, v28, v43, s[36:37]                  // 0000000033FC: D100002B 0092571C
	v_cmp_le_u32_e64 s[36:37], v20, v27                        // 000000003404: D0CB0024 00023714
	v_add_u32_e32 v20, 16, v20                                 // 00000000340C: 68282890
	s_nop 0                                                    // 000000003410: BF800000
	v_cndmask_b32_e64 v44, v28, v44, s[36:37]                  // 000000003414: D100002C 0092591C
	v_cmp_le_u32_e64 s[36:37], v21, v27                        // 00000000341C: D0CB0024 00023715
	v_add_u32_e32 v21, 16, v21                                 // 000000003424: 682A2A90
	s_nop 0                                                    // 000000003428: BF800000
	v_cndmask_b32_e64 v45, v28, v45, s[36:37]                  // 00000000342C: D100002D 00925B1C
	v_cmp_le_u32_e64 s[36:37], v22, v27                        // 000000003434: D0CB0024 00023716
	v_add_u32_e32 v22, 16, v22                                 // 00000000343C: 682C2C90
	s_nop 0                                                    // 000000003440: BF800000
	v_cndmask_b32_e64 v46, v28, v46, s[36:37]                  // 000000003444: D100002E 00925D1C
	v_cmp_le_u32_e64 s[36:37], v23, v27                        // 00000000344C: D0CB0024 00023717
	v_add_u32_e32 v23, 16, v23                                 // 000000003454: 682E2E90
	s_nop 0                                                    // 000000003458: BF800000
	v_cndmask_b32_e64 v47, v28, v47, s[36:37]                  // 00000000345C: D100002F 00925F1C
	v_cmp_le_u32_e64 s[36:37], v20, v27                        // 000000003464: D0CB0024 00023714
	v_add_u32_e32 v20, 16, v20                                 // 00000000346C: 68282890
	s_nop 0                                                    // 000000003470: BF800000
	v_cndmask_b32_e64 v48, v28, v48, s[36:37]                  // 000000003474: D1000030 0092611C
	v_cmp_le_u32_e64 s[36:37], v21, v27                        // 00000000347C: D0CB0024 00023715
	v_add_u32_e32 v21, 16, v21                                 // 000000003484: 682A2A90
	s_nop 0                                                    // 000000003488: BF800000
	v_cndmask_b32_e64 v49, v28, v49, s[36:37]                  // 00000000348C: D1000031 0092631C
	v_cmp_le_u32_e64 s[36:37], v22, v27                        // 000000003494: D0CB0024 00023716
	v_add_u32_e32 v22, 16, v22                                 // 00000000349C: 682C2C90
	s_nop 0                                                    // 0000000034A0: BF800000
	v_cndmask_b32_e64 v50, v28, v50, s[36:37]                  // 0000000034A4: D1000032 0092651C
	v_cmp_le_u32_e64 s[36:37], v23, v27                        // 0000000034AC: D0CB0024 00023717
	v_add_u32_e32 v23, 16, v23                                 // 0000000034B4: 682E2E90
	s_nop 0                                                    // 0000000034B8: BF800000
	v_cndmask_b32_e64 v51, v28, v51, s[36:37]                  // 0000000034BC: D1000033 0092671C

00000000000034c4 <label_10C4>:
	s_add_u32 s83, s84, s83                                    // 0000000034C4: 80535354
	s_nop 2                                                    // 0000000034C8: BF800002
	v_mov_b32_e32 v28, v36                                     // 0000000034CC: 7E380324
	v_max3_f32 v28, v36, v37, v28                              // 0000000034D0: D1D3001C 04724B24
	v_max3_f32 v28, v38, v39, v28                              // 0000000034D8: D1D3001C 04724F26
	v_max3_f32 v28, v40, v41, v28                              // 0000000034E0: D1D3001C 04725328
	v_max3_f32 v28, v42, v43, v28                              // 0000000034E8: D1D3001C 0472572A
	v_max3_f32 v28, v44, v45, v28                              // 0000000034F0: D1D3001C 04725B2C
	v_max3_f32 v28, v46, v47, v28                              // 0000000034F8: D1D3001C 04725F2E
	v_max3_f32 v28, v48, v49, v28                              // 000000003500: D1D3001C 04726330
	v_max3_f32 v28, v50, v51, v28                              // 000000003508: D1D3001C 04726732
	v_mov_b32_e32 v27, v28                                     // 000000003510: 7E36031C
	v_mov_b32_e32 v28, v28                                     // 000000003514: 7E38031C
	s_nop 1                                                    // 000000003518: BF800001
	v_permlane16_swap_b32_e32 v27, v28                         // 00000000351C: 7E36B31C
	v_mov_b32_e32 v30, v27                                     // 000000003520: 7E3C031B
	v_mov_b32_e32 v29, v28                                     // 000000003524: 7E3A031C
	s_nop 1                                                    // 000000003528: BF800001
	v_permlane32_swap_b32_e32 v27, v28                         // 00000000352C: 7E36B51C
	v_permlane32_swap_b32_e32 v29, v30                         // 000000003530: 7E3AB51E
	v_max3_f32 v28, v27, v28, v28                              // 000000003534: D1D3001C 0472391B
	v_max3_f32 v28, v29, v30, v28                              // 00000000353C: D1D3001C 04723D1D
	v_mov_b32_e32 v27, 0xff800000                              // 000000003544: 7E3602FF FF800000
	v_cmp_eq_u32_e64 s[36:37], v27, v2                         // 00000000354C: D0CA0024 0002051B
	v_max_f32_e32 v28, v28, v2                                 // 000000003554: 1638051C
	v_sub_f32_e32 v18, v2, v28                                 // 000000003558: 04243902
	v_cndmask_b32_e64 v18, v18, 0, s[36:37]                    // 00000000355C: D1000012 00910112
	v_mov_b32_e32 v2, v28                                      // 000000003564: 7E04031C
	v_mul_f32_e32 v28, s5, v28                                 // 000000003568: 0A383805
	v_mul_f32_e32 v18, s5, v18                                 // 00000000356C: 0A242405
	v_exp_f32_e32 v18, v18                                     // 000000003570: 7E244112
	v_fma_f32 v36, v36, s5, -v28                               // 000000003574: D1CB0024 84700B24
	v_fma_f32 v37, v37, s5, -v28                               // 00000000357C: D1CB0025 84700B25
	v_fma_f32 v38, v38, s5, -v28                               // 000000003584: D1CB0026 84700B26
	v_fma_f32 v39, v39, s5, -v28                               // 00000000358C: D1CB0027 84700B27
	v_fma_f32 v40, v40, s5, -v28                               // 000000003594: D1CB0028 84700B28
	v_fma_f32 v41, v41, s5, -v28                               // 00000000359C: D1CB0029 84700B29
	v_fma_f32 v42, v42, s5, -v28                               // 0000000035A4: D1CB002A 84700B2A
	v_fma_f32 v43, v43, s5, -v28                               // 0000000035AC: D1CB002B 84700B2B
	v_fma_f32 v44, v44, s5, -v28                               // 0000000035B4: D1CB002C 84700B2C
	v_fma_f32 v45, v45, s5, -v28                               // 0000000035BC: D1CB002D 84700B2D
	v_fma_f32 v46, v46, s5, -v28                               // 0000000035C4: D1CB002E 84700B2E
	v_fma_f32 v47, v47, s5, -v28                               // 0000000035CC: D1CB002F 84700B2F
	v_fma_f32 v48, v48, s5, -v28                               // 0000000035D4: D1CB0030 84700B30
	v_fma_f32 v49, v49, s5, -v28                               // 0000000035DC: D1CB0031 84700B31
	v_fma_f32 v50, v50, s5, -v28                               // 0000000035E4: D1CB0032 84700B32
	v_fma_f32 v51, v51, s5, -v28                               // 0000000035EC: D1CB0033 84700B33
	v_exp_f32_e32 v36, v36                                     // 0000000035F4: 7E484124
	v_exp_f32_e32 v37, v37                                     // 0000000035F8: 7E4A4125
	v_exp_f32_e32 v38, v38                                     // 0000000035FC: 7E4C4126
	v_exp_f32_e32 v39, v39                                     // 000000003600: 7E4E4127
	v_exp_f32_e32 v40, v40                                     // 000000003604: 7E504128
	v_exp_f32_e32 v41, v41                                     // 000000003608: 7E524129
	v_exp_f32_e32 v42, v42                                     // 00000000360C: 7E54412A
	v_exp_f32_e32 v43, v43                                     // 000000003610: 7E56412B
	v_exp_f32_e32 v44, v44                                     // 000000003614: 7E58412C
	v_exp_f32_e32 v45, v45                                     // 000000003618: 7E5A412D
	v_exp_f32_e32 v46, v46                                     // 00000000361C: 7E5C412E
	v_exp_f32_e32 v47, v47                                     // 000000003620: 7E5E412F
	v_exp_f32_e32 v48, v48                                     // 000000003624: 7E604130
	v_exp_f32_e32 v49, v49                                     // 000000003628: 7E624131
	v_exp_f32_e32 v50, v50                                     // 00000000362C: 7E644132
	v_exp_f32_e32 v51, v51                                     // 000000003630: 7E664133
	v_mul_f32_e32 v4, v18, v4                                  // 000000003634: 0A080912
	v_mov_b32_e32 v27, v36                                     // 000000003638: 7E360324
	v_add_f32_e32 v27, v37, v27                                // 00000000363C: 02363725
	v_add_f32_e32 v27, v38, v27                                // 000000003640: 02363726
	v_add_f32_e32 v27, v39, v27                                // 000000003644: 02363727
	;; [unrolled: 1-line block ×3, first 2 shown]
	v_add_f32_e32 v27, v41, v27                                // 00000000364C: 02363729
	v_add_f32_e32 v27, v42, v27                                // 000000003650: 0236372A
	v_add_f32_e32 v27, v43, v27                                // 000000003654: 0236372B
	v_add_f32_e32 v27, v44, v27                                // 000000003658: 0236372C
	v_add_f32_e32 v27, v45, v27                                // 00000000365C: 0236372D
	v_add_f32_e32 v27, v46, v27                                // 000000003660: 0236372E
	v_add_f32_e32 v27, v47, v27                                // 000000003664: 0236372F
	v_add_f32_e32 v27, v48, v27                                // 000000003668: 02363730
	v_add_f32_e32 v27, v49, v27                                // 00000000366C: 02363731
	v_add_f32_e32 v27, v50, v27                                // 000000003670: 02363732
	v_add_f32_e32 v27, v51, v27                                // 000000003674: 02363733
	v_add_f32_e32 v4, v27, v4                                  // 000000003678: 0208091B
	v_cvt_pk_fp8_f32 v36, v36, v37                             // 00000000367C: D2A20024 00024B24
	v_cvt_pk_fp8_f32 v36, v38, v39 op_sel:[0,0,1]              // 000000003684: D2A24024 00024F26
	v_cvt_pk_fp8_f32 v37, v40, v41                             // 00000000368C: D2A20025 00025328
	v_cvt_pk_fp8_f32 v37, v42, v43 op_sel:[0,0,1]              // 000000003694: D2A24025 0002572A
	v_cvt_pk_fp8_f32 v38, v44, v45                             // 00000000369C: D2A20026 00025B2C
	v_cvt_pk_fp8_f32 v38, v46, v47 op_sel:[0,0,1]              // 0000000036A4: D2A24026 00025F2E
	v_cvt_pk_fp8_f32 v39, v48, v49                             // 0000000036AC: D2A20027 00026330
	v_cvt_pk_fp8_f32 v39, v50, v51 op_sel:[0,0,1]              // 0000000036B4: D2A24027 00026732
	s_nop 0                                                    // 0000000036BC: BF800000
	v_permlane16_swap_b32_e32 v36, v37                         // 0000000036C0: 7E48B325
	v_permlane16_swap_b32_e32 v38, v39                         // 0000000036C4: 7E4CB327
	s_nop 0                                                    // 0000000036C8: BF800000
	v_permlane32_swap_b32_e32 v36, v38                         // 0000000036CC: 7E48B526
	v_permlane32_swap_b32_e32 v37, v39                         // 0000000036D0: 7E4AB527
	ds_write_b128 v32, v[36:39]                                // 0000000036D4: D9BE0000 00002420
	s_waitcnt lgkmcnt(0)                                       // 0000000036DC: BF8CC07F
	s_barrier                                                  // 0000000036E0: BF8A0000
	ds_read_b128 v[36:39], v33                                 // 0000000036E4: D9FE0000 24000021
	ds_read_b128 v[40:43], v33 offset:1024                     // 0000000036EC: D9FE0400 28000021
	s_waitcnt lgkmcnt(0)                                       // 0000000036F4: BF8CC07F
	v_permlane16_swap_b32_e32 v36, v40                         // 0000000036F8: 7E48B328
	v_permlane16_swap_b32_e32 v37, v41                         // 0000000036FC: 7E4AB329
	v_permlane16_swap_b32_e32 v38, v42                         // 000000003700: 7E4CB32A
	v_permlane16_swap_b32_e32 v39, v43                         // 000000003704: 7E4EB32B
	v_permlane32_swap_b32_e32 v36, v40                         // 000000003708: 7E48B528
	v_permlane32_swap_b32_e32 v37, v41                         // 00000000370C: 7E4AB529
	v_permlane32_swap_b32_e32 v38, v42                         // 000000003710: 7E4CB52A
	v_permlane32_swap_b32_e32 v39, v43                         // 000000003714: 7E4EB52B
	ds_write_b32 v34, v18                                      // 000000003718: D81A0000 00001222
	s_waitcnt lgkmcnt(0)                                       // 000000003720: BF8CC07F
	s_barrier                                                  // 000000003724: BF8A0000
	ds_read_b32 v27, v35                                       // 000000003728: D86C0000 1B000023
	s_waitcnt lgkmcnt(0)                                       // 000000003730: BF8CC07F
	v_mul_f32_e32 v52, v27, v52                                // 000000003734: 0A68691B
	v_mul_f32_e32 v53, v27, v53                                // 000000003738: 0A6A6B1B
	v_mul_f32_e32 v54, v27, v54                                // 00000000373C: 0A6C6D1B
	v_mul_f32_e32 v55, v27, v55                                // 000000003740: 0A6E6F1B
	v_mul_f32_e32 v56, v27, v56                                // 000000003744: 0A70711B
	v_mul_f32_e32 v57, v27, v57                                // 000000003748: 0A72731B
	v_mul_f32_e32 v58, v27, v58                                // 00000000374C: 0A74751B
	v_mul_f32_e32 v59, v27, v59                                // 000000003750: 0A76771B
	v_mul_f32_e32 v60, v27, v60                                // 000000003754: 0A78791B
	v_mul_f32_e32 v61, v27, v61                                // 000000003758: 0A7A7B1B
	v_mul_f32_e32 v62, v27, v62                                // 00000000375C: 0A7C7D1B
	v_mul_f32_e32 v63, v27, v63                                // 000000003760: 0A7E7F1B
	v_mul_f32_e32 v64, v27, v64                                // 000000003764: 0A80811B
	v_mul_f32_e32 v65, v27, v65                                // 000000003768: 0A82831B
	v_mul_f32_e32 v66, v27, v66                                // 00000000376C: 0A84851B
	v_mul_f32_e32 v67, v27, v67                                // 000000003770: 0A86871B
	v_mul_f32_e32 v68, v27, v68                                // 000000003774: 0A88891B
	v_mul_f32_e32 v69, v27, v69                                // 000000003778: 0A8A8B1B
	v_mul_f32_e32 v70, v27, v70                                // 00000000377C: 0A8C8D1B
	v_mul_f32_e32 v71, v27, v71                                // 000000003780: 0A8E8F1B
	v_mul_f32_e32 v72, v27, v72                                // 000000003784: 0A90911B
	v_mul_f32_e32 v73, v27, v73                                // 000000003788: 0A92931B
	v_mul_f32_e32 v74, v27, v74                                // 00000000378C: 0A94951B
	v_mul_f32_e32 v75, v27, v75                                // 000000003790: 0A96971B
	v_mul_f32_e32 v76, v27, v76                                // 000000003794: 0A98991B
	v_mul_f32_e32 v77, v27, v77                                // 000000003798: 0A9A9B1B
	v_mul_f32_e32 v78, v27, v78                                // 00000000379C: 0A9C9D1B
	v_mul_f32_e32 v79, v27, v79                                // 0000000037A0: 0A9E9F1B
	v_mul_f32_e32 v80, v27, v80                                // 0000000037A4: 0AA0A11B
	v_mul_f32_e32 v81, v27, v81                                // 0000000037A8: 0AA2A31B
	v_mul_f32_e32 v82, v27, v82                                // 0000000037AC: 0AA4A51B
	v_mul_f32_e32 v83, v27, v83                                // 0000000037B0: 0AA6A71B
	v_mul_f32_e32 v84, v27, v84                                // 0000000037B4: 0AA8A91B
	v_mul_f32_e32 v85, v27, v85                                // 0000000037B8: 0AAAAB1B
	v_mul_f32_e32 v86, v27, v86                                // 0000000037BC: 0AACAD1B
	v_mul_f32_e32 v87, v27, v87                                // 0000000037C0: 0AAEAF1B
	v_mul_f32_e32 v88, v27, v88                                // 0000000037C4: 0AB0B11B
	v_mul_f32_e32 v89, v27, v89                                // 0000000037C8: 0AB2B31B
	v_mul_f32_e32 v90, v27, v90                                // 0000000037CC: 0AB4B51B
	v_mul_f32_e32 v91, v27, v91                                // 0000000037D0: 0AB6B71B
	v_mul_f32_e32 v92, v27, v92                                // 0000000037D4: 0AB8B91B
	v_mul_f32_e32 v93, v27, v93                                // 0000000037D8: 0ABABB1B
	v_mul_f32_e32 v94, v27, v94                                // 0000000037DC: 0ABCBD1B
	v_mul_f32_e32 v95, v27, v95                                // 0000000037E0: 0ABEBF1B
	v_mul_f32_e32 v96, v27, v96                                // 0000000037E4: 0AC0C11B
	v_mul_f32_e32 v97, v27, v97                                // 0000000037E8: 0AC2C31B
	v_mul_f32_e32 v98, v27, v98                                // 0000000037EC: 0AC4C51B
	v_mul_f32_e32 v99, v27, v99                                // 0000000037F0: 0AC6C71B
	v_mul_f32_e32 v100, v27, v100                              // 0000000037F4: 0AC8C91B
	v_mul_f32_e32 v101, v27, v101                              // 0000000037F8: 0ACACB1B
	v_mul_f32_e32 v102, v27, v102                              // 0000000037FC: 0ACCCD1B
	v_mul_f32_e32 v103, v27, v103                              // 000000003800: 0ACECF1B
	v_mul_f32_e32 v104, v27, v104                              // 000000003804: 0AD0D11B
	v_mul_f32_e32 v105, v27, v105                              // 000000003808: 0AD2D31B
	v_mul_f32_e32 v106, v27, v106                              // 00000000380C: 0AD4D51B
	v_mul_f32_e32 v107, v27, v107                              // 000000003810: 0AD6D71B
	v_mul_f32_e32 v108, v27, v108                              // 000000003814: 0AD8D91B
	v_mul_f32_e32 v109, v27, v109                              // 000000003818: 0ADADB1B
	v_mul_f32_e32 v110, v27, v110                              // 00000000381C: 0ADCDD1B
	v_mul_f32_e32 v111, v27, v111                              // 000000003820: 0ADEDF1B
	v_mul_f32_e32 v112, v27, v112                              // 000000003824: 0AE0E11B
	v_mul_f32_e32 v113, v27, v113                              // 000000003828: 0AE2E31B
	v_mul_f32_e32 v114, v27, v114                              // 00000000382C: 0AE4E51B
	v_mul_f32_e32 v115, v27, v115                              // 000000003830: 0AE6E71B
	v_mul_f32_e32 v116, v27, v116                              // 000000003834: 0AE8E91B
	v_mul_f32_e32 v117, v27, v117                              // 000000003838: 0AEAEB1B
	v_mul_f32_e32 v118, v27, v118                              // 00000000383C: 0AECED1B
	v_mul_f32_e32 v119, v27, v119                              // 000000003840: 0AEEEF1B
	v_mul_f32_e32 v120, v27, v120                              // 000000003844: 0AF0F11B
	v_mul_f32_e32 v121, v27, v121                              // 000000003848: 0AF2F31B
	v_mul_f32_e32 v122, v27, v122                              // 00000000384C: 0AF4F51B
	v_mul_f32_e32 v123, v27, v123                              // 000000003850: 0AF6F71B
	v_mul_f32_e32 v124, v27, v124                              // 000000003854: 0AF8F91B
	v_mul_f32_e32 v125, v27, v125                              // 000000003858: 0AFAFB1B
	v_mul_f32_e32 v126, v27, v126                              // 00000000385C: 0AFCFD1B
	v_mul_f32_e32 v127, v27, v127                              // 000000003860: 0AFEFF1B
	v_mul_f32_e32 v128, v27, v128                              // 000000003864: 0B01011B
	v_mul_f32_e32 v129, v27, v129                              // 000000003868: 0B03031B
	v_mul_f32_e32 v130, v27, v130                              // 00000000386C: 0B05051B
	v_mul_f32_e32 v131, v27, v131                              // 000000003870: 0B07071B
	v_mul_f32_e32 v132, v27, v132                              // 000000003874: 0B09091B
	v_mul_f32_e32 v133, v27, v133                              // 000000003878: 0B0B0B1B
	v_mul_f32_e32 v134, v27, v134                              // 00000000387C: 0B0D0D1B
	v_mul_f32_e32 v135, v27, v135                              // 000000003880: 0B0F0F1B
	v_mul_f32_e32 v136, v27, v136                              // 000000003884: 0B11111B
	v_mul_f32_e32 v137, v27, v137                              // 000000003888: 0B13131B
	v_mul_f32_e32 v138, v27, v138                              // 00000000388C: 0B15151B
	v_mul_f32_e32 v139, v27, v139                              // 000000003890: 0B17171B
	v_mul_f32_e32 v140, v27, v140                              // 000000003894: 0B19191B
	v_mul_f32_e32 v141, v27, v141                              // 000000003898: 0B1B1B1B
	v_mul_f32_e32 v142, v27, v142                              // 00000000389C: 0B1D1D1B
	v_mul_f32_e32 v143, v27, v143                              // 0000000038A0: 0B1F1F1B
	v_mul_f32_e32 v144, v27, v144                              // 0000000038A4: 0B21211B
	v_mul_f32_e32 v145, v27, v145                              // 0000000038A8: 0B23231B
	v_mul_f32_e32 v146, v27, v146                              // 0000000038AC: 0B25251B
	v_mul_f32_e32 v147, v27, v147                              // 0000000038B0: 0B27271B
	v_mul_f32_e32 v148, v27, v148                              // 0000000038B4: 0B29291B
	v_mul_f32_e32 v149, v27, v149                              // 0000000038B8: 0B2B2B1B
	v_mul_f32_e32 v150, v27, v150                              // 0000000038BC: 0B2D2D1B
	v_mul_f32_e32 v151, v27, v151                              // 0000000038C0: 0B2F2F1B
	v_mul_f32_e32 v152, v27, v152                              // 0000000038C4: 0B31311B
	v_mul_f32_e32 v153, v27, v153                              // 0000000038C8: 0B33331B
	v_mul_f32_e32 v154, v27, v154                              // 0000000038CC: 0B35351B
	v_mul_f32_e32 v155, v27, v155                              // 0000000038D0: 0B37371B
	v_mul_f32_e32 v156, v27, v156                              // 0000000038D4: 0B39391B
	v_mul_f32_e32 v157, v27, v157                              // 0000000038D8: 0B3B3B1B
	v_mul_f32_e32 v158, v27, v158                              // 0000000038DC: 0B3D3D1B
	v_mul_f32_e32 v159, v27, v159                              // 0000000038E0: 0B3F3F1B
	v_mul_f32_e32 v160, v27, v160                              // 0000000038E4: 0B41411B
	v_mul_f32_e32 v161, v27, v161                              // 0000000038E8: 0B43431B
	v_mul_f32_e32 v162, v27, v162                              // 0000000038EC: 0B45451B
	v_mul_f32_e32 v163, v27, v163                              // 0000000038F0: 0B47471B
	v_mul_f32_e32 v164, v27, v164                              // 0000000038F4: 0B49491B
	v_mul_f32_e32 v165, v27, v165                              // 0000000038F8: 0B4B4B1B
	v_mul_f32_e32 v166, v27, v166                              // 0000000038FC: 0B4D4D1B
	v_mul_f32_e32 v167, v27, v167                              // 000000003900: 0B4F4F1B
	v_mul_f32_e32 v168, v27, v168                              // 000000003904: 0B51511B
	v_mul_f32_e32 v169, v27, v169                              // 000000003908: 0B53531B
	v_mul_f32_e32 v170, v27, v170                              // 00000000390C: 0B55551B
	v_mul_f32_e32 v171, v27, v171                              // 000000003910: 0B57571B
	v_mul_f32_e32 v172, v27, v172                              // 000000003914: 0B59591B
	v_mul_f32_e32 v173, v27, v173                              // 000000003918: 0B5B5B1B
	v_mul_f32_e32 v174, v27, v174                              // 00000000391C: 0B5D5D1B
	v_mul_f32_e32 v175, v27, v175                              // 000000003920: 0B5F5F1B
	v_mul_f32_e32 v176, v27, v176                              // 000000003924: 0B61611B
	v_mul_f32_e32 v177, v27, v177                              // 000000003928: 0B63631B
	v_mul_f32_e32 v178, v27, v178                              // 00000000392C: 0B65651B
	v_mul_f32_e32 v179, v27, v179                              // 000000003930: 0B67671B
	s_waitcnt lgkmcnt(0)                                       // 000000003934: BF8CC07F
	v_mfma_f32_32x32x64_f8f6f4 v[52:67], a[120:127], v[36:43], v[52:67]// 000000003938: D3AE0034 0CD24978
	v_mfma_f32_32x32x64_f8f6f4 v[68:83], a[128:135], v[36:43], v[68:83]// 000000003940: D3AE0044 0D124980
	v_mfma_f32_32x32x64_f8f6f4 v[84:99], a[136:143], v[36:43], v[84:99]// 000000003948: D3AE0054 0D524988
	v_mfma_f32_32x32x64_f8f6f4 v[100:115], a[144:151], v[36:43], v[100:115]// 000000003950: D3AE0064 0D924990
	v_mfma_f32_32x32x64_f8f6f4 v[116:131], a[152:159], v[36:43], v[116:131]// 000000003958: D3AE0074 0DD24998
	v_mfma_f32_32x32x64_f8f6f4 v[132:147], a[160:167], v[36:43], v[132:147]// 000000003960: D3AE0084 0E1249A0
	v_mfma_f32_32x32x64_f8f6f4 v[148:163], a[168:175], v[36:43], v[148:163]// 000000003968: D3AE0094 0E5249A8
	v_mfma_f32_32x32x64_f8f6f4 v[164:179], a[176:183], v[36:43], v[164:179]// 000000003970: D3AE00A4 0E9249B0
	s_waitcnt lgkmcnt(0)                                       // 000000003978: BF8CC07F
	s_waitcnt vmcnt(10)                                        // 00000000397C: BF8C0F7A
	s_barrier                                                  // 000000003980: BF8A0000
	ds_read_b128 a[40:43], v22                                 // 000000003984: DBFE0000 28000016
	ds_read_b128 a[44:47], v22 offset:1024                     // 00000000398C: DBFE0400 2C000016
	ds_read_b128 a[48:51], v22 offset:2048                     // 000000003994: DBFE0800 30000016
	ds_read_b128 a[52:55], v22 offset:3072                     // 00000000399C: DBFE0C00 34000016
	ds_read_b128 a[56:59], v22 offset:4096                     // 0000000039A4: DBFE1000 38000016
	ds_read_b128 a[60:63], v22 offset:5120                     // 0000000039AC: DBFE1400 3C000016
	ds_read_b128 a[64:67], v22 offset:6144                     // 0000000039B4: DBFE1800 40000016
	ds_read_b128 a[68:71], v22 offset:7168                     // 0000000039BC: DBFE1C00 44000016
	ds_read_b128 a[72:75], v22 offset:8192                     // 0000000039C4: DBFE2000 48000016
	ds_read_b128 a[80:83], v22 offset:9216                     // 0000000039CC: DBFE2400 50000016
	ds_read_b128 a[84:87], v22 offset:10240                    // 0000000039D4: DBFE2800 54000016
	ds_read_b128 a[88:91], v22 offset:11264                    // 0000000039DC: DBFE2C00 58000016
	ds_read_b128 a[92:95], v22 offset:12288                    // 0000000039E4: DBFE3000 5C000016
	ds_read_b128 a[96:99], v22 offset:13312                    // 0000000039EC: DBFE3400 60000016
	ds_read_b128 a[100:103], v22 offset:14336                  // 0000000039F4: DBFE3800 64000016
	ds_read_b128 a[104:107], v22 offset:15360                  // 0000000039FC: DBFE3C00 68000016
	ds_read_b128 a[108:111], v22 offset:16384                  // 000000003A04: DBFE4000 6C000016
	ds_read_b128 a[112:115], v22 offset:17408                  // 000000003A0C: DBFE4400 70000016
	s_addk_i32 s70, 0x1                                        // 000000003A14: B7460001
	s_cmp_lt_i32 s70, s71                                      // 000000003A18: BF044746
	s_cbranch_scc0 label_2A2C                                  // 000000003A1C: BF840503
	s_waitcnt lgkmcnt(4)                                       // 000000003A20: BF8CC47F
	v_mfma_f32_16x16x128_f8f6f4 v[36:39], a[40:47], a[0:7], 0  // 000000003A24: D3AD0024 1A020128
	v_mul_u32_u24_e64 v30, v23, s68                            // 000000003A2C: D108001E 00008917
	v_add_u32_e32 v30, v30, v1                                 // 000000003A34: 683C031E
	buffer_load_dword v25, v26, s[24:27], 0 offen              // 000000003A38: E0501000 8006191A
	ds_read_b128 a[40:43], v22 offset:18432                    // 000000003A40: DBFE4800 28000016
	v_mfma_f32_16x16x128_f8f6f4 v[36:39], a[48:55], a[8:15], v[36:39]// 000000003A48: D3AD0024 1C921130
	s_mov_b32 s56, 0x14000                                     // 000000003A50: BEB800FF 00014000
	s_mul_i32 s57, s7, 0x2400                                  // 000000003A58: 9239FF07 00002400
	s_add_u32 m0, s56, s57                                     // 000000003A60: 807C3938
	buffer_load_dwordx4 v30, s[20:23], 0 offen lds             // 000000003A64: E05D1000 8005001E
	s_add_i32 m0, m0, 0x3c0                                    // 000000003A6C: 817CFF7C 000003C0
	v_mfma_f32_16x16x128_f8f6f4 v[36:39], a[56:63], a[16:23], v[36:39]// 000000003A74: D3AD0024 1C922138
	ds_read_b128 a[44:47], v22 offset:19456                    // 000000003A7C: DBFE4C00 2C000016
	v_mfma_f32_16x16x128_f8f6f4 v[36:39], a[64:71], a[24:31], v[36:39]// 000000003A84: D3AD0024 1C923140
	buffer_load_dwordx4 v30, s[20:23], 0 offen offset:64 lds   // 000000003A8C: E05D1040 8005001E
	s_add_i32 m0, m0, 0x3c0                                    // 000000003A94: 817CFF7C 000003C0
	v_mfma_f32_16x16x128_f8f6f4 v[36:39], a[72:79], a[32:39], v[36:39]// 000000003A9C: D3AD0024 1C924148
	ds_read_b128 a[48:51], v22 offset:20480                    // 000000003AA4: DBFE5000 30000016
	v_mfma_f32_16x16x128_f8f6f4 v[40:43], a[80:87], a[0:7], 0  // 000000003AAC: D3AD0028 1A020150
	buffer_load_dwordx4 v30, s[20:23], 0 offen offset:128 lds  // 000000003AB4: E05D1080 8005001E
	s_add_i32 m0, m0, 0x3c0                                    // 000000003ABC: 817CFF7C 000003C0
	v_mfma_f32_16x16x128_f8f6f4 v[40:43], a[88:95], a[8:15], v[40:43]// 000000003AC4: D3AD0028 1CA21158
	ds_read_b128 a[52:55], v22 offset:21504                    // 000000003ACC: DBFE5400 34000016
	v_mfma_f32_16x16x128_f8f6f4 v[40:43], a[96:103], a[16:23], v[40:43]// 000000003AD4: D3AD0028 1CA22160
	buffer_load_dwordx4 v30, s[20:23], 0 offen offset:192 lds  // 000000003ADC: E05D10C0 8005001E
	s_add_i32 m0, m0, 0x3c0                                    // 000000003AE4: 817CFF7C 000003C0
	v_mfma_f32_16x16x128_f8f6f4 v[40:43], a[104:111], a[24:31], v[40:43]// 000000003AEC: D3AD0028 1CA23168
	ds_read_b128 a[56:59], v22 offset:22528                    // 000000003AF4: DBFE5800 38000016
	v_mfma_f32_16x16x128_f8f6f4 v[40:43], a[112:119], a[32:39], v[40:43]// 000000003AFC: D3AD0028 1CA24170
	buffer_load_dwordx4 v30, s[20:23], 0 offen offset:256 lds  // 000000003B04: E05D1100 8005001E
	s_add_i32 m0, m0, 0x3c0                                    // 000000003B0C: 817CFF7C 000003C0
	buffer_load_dwordx4 v30, s[20:23], 0 offen offset:320 lds  // 000000003B14: E05D1140 8005001E
	s_add_i32 m0, m0, 0x3c0                                    // 000000003B1C: 817CFF7C 000003C0
	buffer_load_dwordx4 v30, s[20:23], 0 offen offset:384 lds  // 000000003B24: E05D1180 8005001E
	s_add_i32 m0, m0, 0x3c0                                    // 000000003B2C: 817CFF7C 000003C0
	buffer_load_dwordx4 v30, s[20:23], 0 offen offset:448 lds  // 000000003B34: E05D11C0 8005001E
	s_add_i32 m0, m0, 0x3c0                                    // 000000003B3C: 817CFF7C 000003C0
	buffer_load_dwordx4 v30, s[20:23], 0 offen offset:512 lds  // 000000003B44: E05D1200 8005001E
	s_add_i32 m0, m0, 0x3c0                                    // 000000003B4C: 817CFF7C 000003C0
	ds_read_b128 a[60:63], v22 offset:23552                    // 000000003B54: DBFE5C00 3C000016
	ds_read_b128 a[64:67], v22 offset:24576                    // 000000003B5C: DBFE6000 40000016
	ds_read_b128 a[68:71], v22 offset:25600                    // 000000003B64: DBFE6400 44000016
	ds_read_b128 a[72:75], v22 offset:26624                    // 000000003B6C: DBFE6800 48000016
	ds_read_b128 a[80:83], v22 offset:27648                    // 000000003B74: DBFE6C00 50000016
	ds_read_b128 a[84:87], v22 offset:28672                    // 000000003B7C: DBFE7000 54000016
	ds_read_b128 a[88:91], v22 offset:29696                    // 000000003B84: DBFE7400 58000016
	ds_read_b128 a[92:95], v22 offset:30720                    // 000000003B8C: DBFE7800 5C000016
	ds_read_b128 a[96:99], v22 offset:31744                    // 000000003B94: DBFE7C00 60000016
	ds_read_b128 a[100:103], v22 offset:32768                  // 000000003B9C: DBFE8000 64000016
	ds_read_b128 a[104:107], v22 offset:33792                  // 000000003BA4: DBFE8400 68000016
	ds_read_b128 a[108:111], v22 offset:34816                  // 000000003BAC: DBFE8800 6C000016
	ds_read_b128 a[112:115], v22 offset:35840                  // 000000003BB4: DBFE8C00 70000016
	v_add_u32_e32 v26, s73, v26                                // 000000003BBC: 68343449
	s_waitcnt lgkmcnt(4)                                       // 000000003BC0: BF8CC47F
	v_mfma_f32_16x16x128_f8f6f4 v[44:47], a[40:47], a[0:7], 0  // 000000003BC4: D3AD002C 1A020128
	ds_read_b64_tr_b8 a[120:121], v14                          // 000000003BCC: DBC40000 7800000E
	ds_read_b64_tr_b8 a[122:123], v15                          // 000000003BD4: DBC40000 7A00000F
	ds_read_b64_tr_b8 a[124:125], v14 offset:18432             // 000000003BDC: DBC44800 7C00000E
	ds_read_b64_tr_b8 a[126:127], v15 offset:18432             // 000000003BE4: DBC44800 7E00000F
	v_mfma_f32_16x16x128_f8f6f4 v[44:47], a[48:55], a[8:15], v[44:47]// 000000003BEC: D3AD002C 1CB21130
	v_mfma_f32_16x16x128_f8f6f4 v[44:47], a[56:63], a[16:23], v[44:47]// 000000003BF4: D3AD002C 1CB22138
	ds_read_b64_tr_b8 a[128:129], v16                          // 000000003BFC: DBC40000 80000010
	ds_read_b64_tr_b8 a[130:131], v17                          // 000000003C04: DBC40000 82000011
	ds_read_b64_tr_b8 a[132:133], v16 offset:18432             // 000000003C0C: DBC44800 84000010
	ds_read_b64_tr_b8 a[134:135], v17 offset:18432             // 000000003C14: DBC44800 86000011
	v_mfma_f32_16x16x128_f8f6f4 v[44:47], a[64:71], a[24:31], v[44:47]// 000000003C1C: D3AD002C 1CB23140
	v_mfma_f32_16x16x128_f8f6f4 v[44:47], a[72:79], a[32:39], v[44:47]// 000000003C24: D3AD002C 1CB24148
	ds_read_b64_tr_b8 a[136:137], v14 offset:1024              // 000000003C2C: DBC40400 8800000E
	ds_read_b64_tr_b8 a[138:139], v15 offset:1024              // 000000003C34: DBC40400 8A00000F
	ds_read_b64_tr_b8 a[140:141], v14 offset:19456             // 000000003C3C: DBC44C00 8C00000E
	ds_read_b64_tr_b8 a[142:143], v15 offset:19456             // 000000003C44: DBC44C00 8E00000F
	v_mfma_f32_16x16x128_f8f6f4 v[48:51], a[80:87], a[0:7], 0  // 000000003C4C: D3AD0030 1A020150
	v_mfma_f32_16x16x128_f8f6f4 v[48:51], a[88:95], a[8:15], v[48:51]// 000000003C54: D3AD0030 1CC21158
	ds_read_b64_tr_b8 a[144:145], v16 offset:1024              // 000000003C5C: DBC40400 90000010
	ds_read_b64_tr_b8 a[146:147], v17 offset:1024              // 000000003C64: DBC40400 92000011
	ds_read_b64_tr_b8 a[148:149], v16 offset:19456             // 000000003C6C: DBC44C00 94000010
	ds_read_b64_tr_b8 a[150:151], v17 offset:19456             // 000000003C74: DBC44C00 96000011
	v_mfma_f32_16x16x128_f8f6f4 v[48:51], a[96:103], a[16:23], v[48:51]// 000000003C7C: D3AD0030 1CC22160
	v_mfma_f32_16x16x128_f8f6f4 v[48:51], a[104:111], a[24:31], v[48:51]// 000000003C84: D3AD0030 1CC23168
	ds_read_b64_tr_b8 a[152:153], v14 offset:2048              // 000000003C8C: DBC40800 9800000E
	ds_read_b64_tr_b8 a[154:155], v15 offset:2048              // 000000003C94: DBC40800 9A00000F
	ds_read_b64_tr_b8 a[156:157], v14 offset:20480             // 000000003C9C: DBC45000 9C00000E
	ds_read_b64_tr_b8 a[158:159], v15 offset:20480             // 000000003CA4: DBC45000 9E00000F
	v_mfma_f32_16x16x128_f8f6f4 v[48:51], a[112:119], a[32:39], v[48:51]// 000000003CAC: D3AD0030 1CC24170
	ds_read_b64_tr_b8 a[160:161], v16 offset:2048              // 000000003CB4: DBC40800 A0000010
	ds_read_b64_tr_b8 a[162:163], v17 offset:2048              // 000000003CBC: DBC40800 A2000011
	ds_read_b64_tr_b8 a[164:165], v16 offset:20480             // 000000003CC4: DBC45000 A4000010
	ds_read_b64_tr_b8 a[166:167], v17 offset:20480             // 000000003CCC: DBC45000 A6000011
	ds_read_b64_tr_b8 a[168:169], v14 offset:3072              // 000000003CD4: DBC40C00 A800000E
	ds_read_b64_tr_b8 a[170:171], v15 offset:3072              // 000000003CDC: DBC40C00 AA00000F
	ds_read_b64_tr_b8 a[172:173], v14 offset:21504             // 000000003CE4: DBC45400 AC00000E
	ds_read_b64_tr_b8 a[174:175], v15 offset:21504             // 000000003CEC: DBC45400 AE00000F
	ds_read_b64_tr_b8 a[176:177], v16 offset:3072              // 000000003CF4: DBC40C00 B0000010
	ds_read_b64_tr_b8 a[178:179], v17 offset:3072              // 000000003CFC: DBC40C00 B2000011
	ds_read_b64_tr_b8 a[180:181], v16 offset:21504             // 000000003D04: DBC45400 B4000010
	ds_read_b64_tr_b8 a[182:183], v17 offset:21504             // 000000003D0C: DBC45400 B6000011
	s_cmp_le_i32 s83, s82                                      // 000000003D14: BF055253
	s_cbranch_scc1 label_1AC8                                  // 000000003D18: BF85006B
	v_mov_b32_e32 v27, s82                                     // 000000003D1C: 7E360252
	v_add_u32_e32 v27, s7, v27                                 // 000000003D20: 68363607
	s_sub_u32 s56, s83, 63                                     // 000000003D24: 80B8BF53
	v_lshrrev_b32_e32 v20, 4, v0                               // 000000003D28: 20280084
	v_mul_i32_i24_e32 v20, 4, v20                              // 000000003D2C: 0C282884
	v_add_u32_e32 v20, s56, v20                                // 000000003D30: 68282838
	v_add_u32_e32 v21, 1, v20                                  // 000000003D34: 682A2881
	v_add_u32_e32 v22, 2, v20                                  // 000000003D38: 682C2882
	v_add_u32_e32 v23, 3, v20                                  // 000000003D3C: 682E2883
	v_mov_b32_e32 v28, 0xff800000                              // 000000003D40: 7E3802FF FF800000
	v_cmp_le_u32_e64 s[36:37], v20, v27                        // 000000003D48: D0CB0024 00023714
	v_add_u32_e32 v20, 16, v20                                 // 000000003D50: 68282890
	s_nop 0                                                    // 000000003D54: BF800000
	v_cndmask_b32_e64 v36, v28, v36, s[36:37]                  // 000000003D58: D1000024 0092491C
	v_cmp_le_u32_e64 s[36:37], v21, v27                        // 000000003D60: D0CB0024 00023715
	v_add_u32_e32 v21, 16, v21                                 // 000000003D68: 682A2A90
	s_nop 0                                                    // 000000003D6C: BF800000
	v_cndmask_b32_e64 v37, v28, v37, s[36:37]                  // 000000003D70: D1000025 00924B1C
	v_cmp_le_u32_e64 s[36:37], v22, v27                        // 000000003D78: D0CB0024 00023716
	v_add_u32_e32 v22, 16, v22                                 // 000000003D80: 682C2C90
	s_nop 0                                                    // 000000003D84: BF800000
	v_cndmask_b32_e64 v38, v28, v38, s[36:37]                  // 000000003D88: D1000026 00924D1C
	v_cmp_le_u32_e64 s[36:37], v23, v27                        // 000000003D90: D0CB0024 00023717
	v_add_u32_e32 v23, 16, v23                                 // 000000003D98: 682E2E90
	s_nop 0                                                    // 000000003D9C: BF800000
	v_cndmask_b32_e64 v39, v28, v39, s[36:37]                  // 000000003DA0: D1000027 00924F1C
	v_cmp_le_u32_e64 s[36:37], v20, v27                        // 000000003DA8: D0CB0024 00023714
	v_add_u32_e32 v20, 16, v20                                 // 000000003DB0: 68282890
	s_nop 0                                                    // 000000003DB4: BF800000
	v_cndmask_b32_e64 v40, v28, v40, s[36:37]                  // 000000003DB8: D1000028 0092511C
	v_cmp_le_u32_e64 s[36:37], v21, v27                        // 000000003DC0: D0CB0024 00023715
	v_add_u32_e32 v21, 16, v21                                 // 000000003DC8: 682A2A90
	s_nop 0                                                    // 000000003DCC: BF800000
	v_cndmask_b32_e64 v41, v28, v41, s[36:37]                  // 000000003DD0: D1000029 0092531C
	v_cmp_le_u32_e64 s[36:37], v22, v27                        // 000000003DD8: D0CB0024 00023716
	v_add_u32_e32 v22, 16, v22                                 // 000000003DE0: 682C2C90
	s_nop 0                                                    // 000000003DE4: BF800000
	v_cndmask_b32_e64 v42, v28, v42, s[36:37]                  // 000000003DE8: D100002A 0092551C
	v_cmp_le_u32_e64 s[36:37], v23, v27                        // 000000003DF0: D0CB0024 00023717
	v_add_u32_e32 v23, 16, v23                                 // 000000003DF8: 682E2E90
	s_nop 0                                                    // 000000003DFC: BF800000
	v_cndmask_b32_e64 v43, v28, v43, s[36:37]                  // 000000003E00: D100002B 0092571C
	v_cmp_le_u32_e64 s[36:37], v20, v27                        // 000000003E08: D0CB0024 00023714
	v_add_u32_e32 v20, 16, v20                                 // 000000003E10: 68282890
	s_nop 0                                                    // 000000003E14: BF800000
	v_cndmask_b32_e64 v44, v28, v44, s[36:37]                  // 000000003E18: D100002C 0092591C
	v_cmp_le_u32_e64 s[36:37], v21, v27                        // 000000003E20: D0CB0024 00023715
	v_add_u32_e32 v21, 16, v21                                 // 000000003E28: 682A2A90
	s_nop 0                                                    // 000000003E2C: BF800000
	v_cndmask_b32_e64 v45, v28, v45, s[36:37]                  // 000000003E30: D100002D 00925B1C
	v_cmp_le_u32_e64 s[36:37], v22, v27                        // 000000003E38: D0CB0024 00023716
	v_add_u32_e32 v22, 16, v22                                 // 000000003E40: 682C2C90
	s_nop 0                                                    // 000000003E44: BF800000
	v_cndmask_b32_e64 v46, v28, v46, s[36:37]                  // 000000003E48: D100002E 00925D1C
	v_cmp_le_u32_e64 s[36:37], v23, v27                        // 000000003E50: D0CB0024 00023717
	v_add_u32_e32 v23, 16, v23                                 // 000000003E58: 682E2E90
	s_nop 0                                                    // 000000003E5C: BF800000
	v_cndmask_b32_e64 v47, v28, v47, s[36:37]                  // 000000003E60: D100002F 00925F1C
	v_cmp_le_u32_e64 s[36:37], v20, v27                        // 000000003E68: D0CB0024 00023714
	v_add_u32_e32 v20, 16, v20                                 // 000000003E70: 68282890
	s_nop 0                                                    // 000000003E74: BF800000
	v_cndmask_b32_e64 v48, v28, v48, s[36:37]                  // 000000003E78: D1000030 0092611C
	v_cmp_le_u32_e64 s[36:37], v21, v27                        // 000000003E80: D0CB0024 00023715
	v_add_u32_e32 v21, 16, v21                                 // 000000003E88: 682A2A90
	s_nop 0                                                    // 000000003E8C: BF800000
	v_cndmask_b32_e64 v49, v28, v49, s[36:37]                  // 000000003E90: D1000031 0092631C
	v_cmp_le_u32_e64 s[36:37], v22, v27                        // 000000003E98: D0CB0024 00023716
	v_add_u32_e32 v22, 16, v22                                 // 000000003EA0: 682C2C90
	s_nop 0                                                    // 000000003EA4: BF800000
	v_cndmask_b32_e64 v50, v28, v50, s[36:37]                  // 000000003EA8: D1000032 0092651C
	v_cmp_le_u32_e64 s[36:37], v23, v27                        // 000000003EB0: D0CB0024 00023717
	v_add_u32_e32 v23, 16, v23                                 // 000000003EB8: 682E2E90
	s_nop 0                                                    // 000000003EBC: BF800000
	v_cndmask_b32_e64 v51, v28, v51, s[36:37]                  // 000000003EC0: D1000033 0092671C

0000000000003ec8 <label_1AC8>:
	s_add_u32 s83, s84, s83                                    // 000000003EC8: 80535354
	s_nop 2                                                    // 000000003ECC: BF800002
	v_mov_b32_e32 v28, v36                                     // 000000003ED0: 7E380324
	v_max3_f32 v28, v36, v37, v28                              // 000000003ED4: D1D3001C 04724B24
	v_max3_f32 v28, v38, v39, v28                              // 000000003EDC: D1D3001C 04724F26
	v_max3_f32 v28, v40, v41, v28                              // 000000003EE4: D1D3001C 04725328
	v_max3_f32 v28, v42, v43, v28                              // 000000003EEC: D1D3001C 0472572A
	v_max3_f32 v28, v44, v45, v28                              // 000000003EF4: D1D3001C 04725B2C
	v_max3_f32 v28, v46, v47, v28                              // 000000003EFC: D1D3001C 04725F2E
	v_max3_f32 v28, v48, v49, v28                              // 000000003F04: D1D3001C 04726330
	v_max3_f32 v28, v50, v51, v28                              // 000000003F0C: D1D3001C 04726732
	v_mov_b32_e32 v27, v28                                     // 000000003F14: 7E36031C
	v_mov_b32_e32 v28, v28                                     // 000000003F18: 7E38031C
	s_nop 1                                                    // 000000003F1C: BF800001
	v_permlane16_swap_b32_e32 v27, v28                         // 000000003F20: 7E36B31C
	v_mov_b32_e32 v30, v27                                     // 000000003F24: 7E3C031B
	v_mov_b32_e32 v29, v28                                     // 000000003F28: 7E3A031C
	s_nop 1                                                    // 000000003F2C: BF800001
	v_permlane32_swap_b32_e32 v27, v28                         // 000000003F30: 7E36B51C
	v_permlane32_swap_b32_e32 v29, v30                         // 000000003F34: 7E3AB51E
	v_max3_f32 v28, v27, v28, v28                              // 000000003F38: D1D3001C 0472391B
	v_max3_f32 v28, v29, v30, v28                              // 000000003F40: D1D3001C 04723D1D
	v_mov_b32_e32 v27, 0xff800000                              // 000000003F48: 7E3602FF FF800000
	v_cmp_eq_u32_e64 s[36:37], v27, v2                         // 000000003F50: D0CA0024 0002051B
	v_max_f32_e32 v28, v28, v2                                 // 000000003F58: 1638051C
	v_sub_f32_e32 v18, v2, v28                                 // 000000003F5C: 04243902
	v_cndmask_b32_e64 v18, v18, 0, s[36:37]                    // 000000003F60: D1000012 00910112
	v_mov_b32_e32 v2, v28                                      // 000000003F68: 7E04031C
	v_mul_f32_e32 v28, s5, v28                                 // 000000003F6C: 0A383805
	v_mul_f32_e32 v18, s5, v18                                 // 000000003F70: 0A242405
	v_exp_f32_e32 v18, v18                                     // 000000003F74: 7E244112
	v_fma_f32 v36, v36, s5, -v28                               // 000000003F78: D1CB0024 84700B24
	v_fma_f32 v37, v37, s5, -v28                               // 000000003F80: D1CB0025 84700B25
	v_fma_f32 v38, v38, s5, -v28                               // 000000003F88: D1CB0026 84700B26
	v_fma_f32 v39, v39, s5, -v28                               // 000000003F90: D1CB0027 84700B27
	v_fma_f32 v40, v40, s5, -v28                               // 000000003F98: D1CB0028 84700B28
	v_fma_f32 v41, v41, s5, -v28                               // 000000003FA0: D1CB0029 84700B29
	v_fma_f32 v42, v42, s5, -v28                               // 000000003FA8: D1CB002A 84700B2A
	v_fma_f32 v43, v43, s5, -v28                               // 000000003FB0: D1CB002B 84700B2B
	v_fma_f32 v44, v44, s5, -v28                               // 000000003FB8: D1CB002C 84700B2C
	v_fma_f32 v45, v45, s5, -v28                               // 000000003FC0: D1CB002D 84700B2D
	v_fma_f32 v46, v46, s5, -v28                               // 000000003FC8: D1CB002E 84700B2E
	v_fma_f32 v47, v47, s5, -v28                               // 000000003FD0: D1CB002F 84700B2F
	v_fma_f32 v48, v48, s5, -v28                               // 000000003FD8: D1CB0030 84700B30
	v_fma_f32 v49, v49, s5, -v28                               // 000000003FE0: D1CB0031 84700B31
	v_fma_f32 v50, v50, s5, -v28                               // 000000003FE8: D1CB0032 84700B32
	v_fma_f32 v51, v51, s5, -v28                               // 000000003FF0: D1CB0033 84700B33
	v_exp_f32_e32 v36, v36                                     // 000000003FF8: 7E484124
	v_exp_f32_e32 v37, v37                                     // 000000003FFC: 7E4A4125
	v_exp_f32_e32 v38, v38                                     // 000000004000: 7E4C4126
	v_exp_f32_e32 v39, v39                                     // 000000004004: 7E4E4127
	v_exp_f32_e32 v40, v40                                     // 000000004008: 7E504128
	v_exp_f32_e32 v41, v41                                     // 00000000400C: 7E524129
	v_exp_f32_e32 v42, v42                                     // 000000004010: 7E54412A
	v_exp_f32_e32 v43, v43                                     // 000000004014: 7E56412B
	v_exp_f32_e32 v44, v44                                     // 000000004018: 7E58412C
	v_exp_f32_e32 v45, v45                                     // 00000000401C: 7E5A412D
	v_exp_f32_e32 v46, v46                                     // 000000004020: 7E5C412E
	v_exp_f32_e32 v47, v47                                     // 000000004024: 7E5E412F
	v_exp_f32_e32 v48, v48                                     // 000000004028: 7E604130
	v_exp_f32_e32 v49, v49                                     // 00000000402C: 7E624131
	v_exp_f32_e32 v50, v50                                     // 000000004030: 7E644132
	v_exp_f32_e32 v51, v51                                     // 000000004034: 7E664133
	v_mul_f32_e32 v4, v18, v4                                  // 000000004038: 0A080912
	v_mov_b32_e32 v27, v36                                     // 00000000403C: 7E360324
	v_add_f32_e32 v27, v37, v27                                // 000000004040: 02363725
	v_add_f32_e32 v27, v38, v27                                // 000000004044: 02363726
	;; [unrolled: 1-line block ×3, first 2 shown]
	v_add_f32_e32 v27, v40, v27                                // 00000000404C: 02363728
	v_add_f32_e32 v27, v41, v27                                // 000000004050: 02363729
	v_add_f32_e32 v27, v42, v27                                // 000000004054: 0236372A
	v_add_f32_e32 v27, v43, v27                                // 000000004058: 0236372B
	v_add_f32_e32 v27, v44, v27                                // 00000000405C: 0236372C
	v_add_f32_e32 v27, v45, v27                                // 000000004060: 0236372D
	v_add_f32_e32 v27, v46, v27                                // 000000004064: 0236372E
	v_add_f32_e32 v27, v47, v27                                // 000000004068: 0236372F
	v_add_f32_e32 v27, v48, v27                                // 00000000406C: 02363730
	v_add_f32_e32 v27, v49, v27                                // 000000004070: 02363731
	v_add_f32_e32 v27, v50, v27                                // 000000004074: 02363732
	;; [unrolled: 1-line block ×3, first 2 shown]
	v_add_f32_e32 v4, v27, v4                                  // 00000000407C: 0208091B
	v_cvt_pk_fp8_f32 v36, v36, v37                             // 000000004080: D2A20024 00024B24
	v_cvt_pk_fp8_f32 v36, v38, v39 op_sel:[0,0,1]              // 000000004088: D2A24024 00024F26
	v_cvt_pk_fp8_f32 v37, v40, v41                             // 000000004090: D2A20025 00025328
	v_cvt_pk_fp8_f32 v37, v42, v43 op_sel:[0,0,1]              // 000000004098: D2A24025 0002572A
	v_cvt_pk_fp8_f32 v38, v44, v45                             // 0000000040A0: D2A20026 00025B2C
	v_cvt_pk_fp8_f32 v38, v46, v47 op_sel:[0,0,1]              // 0000000040A8: D2A24026 00025F2E
	v_cvt_pk_fp8_f32 v39, v48, v49                             // 0000000040B0: D2A20027 00026330
	v_cvt_pk_fp8_f32 v39, v50, v51 op_sel:[0,0,1]              // 0000000040B8: D2A24027 00026732
	s_nop 0                                                    // 0000000040C0: BF800000
	v_permlane16_swap_b32_e32 v36, v37                         // 0000000040C4: 7E48B325
	v_permlane16_swap_b32_e32 v38, v39                         // 0000000040C8: 7E4CB327
	s_nop 0                                                    // 0000000040CC: BF800000
	v_permlane32_swap_b32_e32 v36, v38                         // 0000000040D0: 7E48B526
	v_permlane32_swap_b32_e32 v37, v39                         // 0000000040D4: 7E4AB527
	ds_write_b128 v32, v[36:39]                                // 0000000040D8: D9BE0000 00002420
	s_waitcnt lgkmcnt(0)                                       // 0000000040E0: BF8CC07F
	s_barrier                                                  // 0000000040E4: BF8A0000
	ds_read_b128 v[36:39], v33                                 // 0000000040E8: D9FE0000 24000021
	ds_read_b128 v[40:43], v33 offset:1024                     // 0000000040F0: D9FE0400 28000021
	s_waitcnt lgkmcnt(0)                                       // 0000000040F8: BF8CC07F
	v_permlane16_swap_b32_e32 v36, v40                         // 0000000040FC: 7E48B328
	v_permlane16_swap_b32_e32 v37, v41                         // 000000004100: 7E4AB329
	v_permlane16_swap_b32_e32 v38, v42                         // 000000004104: 7E4CB32A
	v_permlane16_swap_b32_e32 v39, v43                         // 000000004108: 7E4EB32B
	v_permlane32_swap_b32_e32 v36, v40                         // 00000000410C: 7E48B528
	v_permlane32_swap_b32_e32 v37, v41                         // 000000004110: 7E4AB529
	v_permlane32_swap_b32_e32 v38, v42                         // 000000004114: 7E4CB52A
	v_permlane32_swap_b32_e32 v39, v43                         // 000000004118: 7E4EB52B
	ds_write_b32 v34, v18                                      // 00000000411C: D81A0000 00001222
	s_waitcnt lgkmcnt(0)                                       // 000000004124: BF8CC07F
	s_barrier                                                  // 000000004128: BF8A0000
	ds_read_b32 v27, v35                                       // 00000000412C: D86C0000 1B000023
	s_waitcnt lgkmcnt(0)                                       // 000000004134: BF8CC07F
	v_mul_f32_e32 v52, v27, v52                                // 000000004138: 0A68691B
	v_mul_f32_e32 v53, v27, v53                                // 00000000413C: 0A6A6B1B
	v_mul_f32_e32 v54, v27, v54                                // 000000004140: 0A6C6D1B
	v_mul_f32_e32 v55, v27, v55                                // 000000004144: 0A6E6F1B
	v_mul_f32_e32 v56, v27, v56                                // 000000004148: 0A70711B
	v_mul_f32_e32 v57, v27, v57                                // 00000000414C: 0A72731B
	v_mul_f32_e32 v58, v27, v58                                // 000000004150: 0A74751B
	v_mul_f32_e32 v59, v27, v59                                // 000000004154: 0A76771B
	v_mul_f32_e32 v60, v27, v60                                // 000000004158: 0A78791B
	v_mul_f32_e32 v61, v27, v61                                // 00000000415C: 0A7A7B1B
	v_mul_f32_e32 v62, v27, v62                                // 000000004160: 0A7C7D1B
	v_mul_f32_e32 v63, v27, v63                                // 000000004164: 0A7E7F1B
	v_mul_f32_e32 v64, v27, v64                                // 000000004168: 0A80811B
	v_mul_f32_e32 v65, v27, v65                                // 00000000416C: 0A82831B
	v_mul_f32_e32 v66, v27, v66                                // 000000004170: 0A84851B
	v_mul_f32_e32 v67, v27, v67                                // 000000004174: 0A86871B
	v_mul_f32_e32 v68, v27, v68                                // 000000004178: 0A88891B
	v_mul_f32_e32 v69, v27, v69                                // 00000000417C: 0A8A8B1B
	v_mul_f32_e32 v70, v27, v70                                // 000000004180: 0A8C8D1B
	v_mul_f32_e32 v71, v27, v71                                // 000000004184: 0A8E8F1B
	v_mul_f32_e32 v72, v27, v72                                // 000000004188: 0A90911B
	v_mul_f32_e32 v73, v27, v73                                // 00000000418C: 0A92931B
	v_mul_f32_e32 v74, v27, v74                                // 000000004190: 0A94951B
	v_mul_f32_e32 v75, v27, v75                                // 000000004194: 0A96971B
	v_mul_f32_e32 v76, v27, v76                                // 000000004198: 0A98991B
	v_mul_f32_e32 v77, v27, v77                                // 00000000419C: 0A9A9B1B
	v_mul_f32_e32 v78, v27, v78                                // 0000000041A0: 0A9C9D1B
	v_mul_f32_e32 v79, v27, v79                                // 0000000041A4: 0A9E9F1B
	v_mul_f32_e32 v80, v27, v80                                // 0000000041A8: 0AA0A11B
	v_mul_f32_e32 v81, v27, v81                                // 0000000041AC: 0AA2A31B
	v_mul_f32_e32 v82, v27, v82                                // 0000000041B0: 0AA4A51B
	v_mul_f32_e32 v83, v27, v83                                // 0000000041B4: 0AA6A71B
	v_mul_f32_e32 v84, v27, v84                                // 0000000041B8: 0AA8A91B
	v_mul_f32_e32 v85, v27, v85                                // 0000000041BC: 0AAAAB1B
	v_mul_f32_e32 v86, v27, v86                                // 0000000041C0: 0AACAD1B
	v_mul_f32_e32 v87, v27, v87                                // 0000000041C4: 0AAEAF1B
	v_mul_f32_e32 v88, v27, v88                                // 0000000041C8: 0AB0B11B
	v_mul_f32_e32 v89, v27, v89                                // 0000000041CC: 0AB2B31B
	v_mul_f32_e32 v90, v27, v90                                // 0000000041D0: 0AB4B51B
	v_mul_f32_e32 v91, v27, v91                                // 0000000041D4: 0AB6B71B
	v_mul_f32_e32 v92, v27, v92                                // 0000000041D8: 0AB8B91B
	v_mul_f32_e32 v93, v27, v93                                // 0000000041DC: 0ABABB1B
	v_mul_f32_e32 v94, v27, v94                                // 0000000041E0: 0ABCBD1B
	v_mul_f32_e32 v95, v27, v95                                // 0000000041E4: 0ABEBF1B
	v_mul_f32_e32 v96, v27, v96                                // 0000000041E8: 0AC0C11B
	v_mul_f32_e32 v97, v27, v97                                // 0000000041EC: 0AC2C31B
	v_mul_f32_e32 v98, v27, v98                                // 0000000041F0: 0AC4C51B
	v_mul_f32_e32 v99, v27, v99                                // 0000000041F4: 0AC6C71B
	v_mul_f32_e32 v100, v27, v100                              // 0000000041F8: 0AC8C91B
	v_mul_f32_e32 v101, v27, v101                              // 0000000041FC: 0ACACB1B
	v_mul_f32_e32 v102, v27, v102                              // 000000004200: 0ACCCD1B
	v_mul_f32_e32 v103, v27, v103                              // 000000004204: 0ACECF1B
	v_mul_f32_e32 v104, v27, v104                              // 000000004208: 0AD0D11B
	v_mul_f32_e32 v105, v27, v105                              // 00000000420C: 0AD2D31B
	v_mul_f32_e32 v106, v27, v106                              // 000000004210: 0AD4D51B
	v_mul_f32_e32 v107, v27, v107                              // 000000004214: 0AD6D71B
	v_mul_f32_e32 v108, v27, v108                              // 000000004218: 0AD8D91B
	v_mul_f32_e32 v109, v27, v109                              // 00000000421C: 0ADADB1B
	v_mul_f32_e32 v110, v27, v110                              // 000000004220: 0ADCDD1B
	v_mul_f32_e32 v111, v27, v111                              // 000000004224: 0ADEDF1B
	v_mul_f32_e32 v112, v27, v112                              // 000000004228: 0AE0E11B
	v_mul_f32_e32 v113, v27, v113                              // 00000000422C: 0AE2E31B
	v_mul_f32_e32 v114, v27, v114                              // 000000004230: 0AE4E51B
	v_mul_f32_e32 v115, v27, v115                              // 000000004234: 0AE6E71B
	v_mul_f32_e32 v116, v27, v116                              // 000000004238: 0AE8E91B
	v_mul_f32_e32 v117, v27, v117                              // 00000000423C: 0AEAEB1B
	v_mul_f32_e32 v118, v27, v118                              // 000000004240: 0AECED1B
	v_mul_f32_e32 v119, v27, v119                              // 000000004244: 0AEEEF1B
	v_mul_f32_e32 v120, v27, v120                              // 000000004248: 0AF0F11B
	v_mul_f32_e32 v121, v27, v121                              // 00000000424C: 0AF2F31B
	v_mul_f32_e32 v122, v27, v122                              // 000000004250: 0AF4F51B
	v_mul_f32_e32 v123, v27, v123                              // 000000004254: 0AF6F71B
	v_mul_f32_e32 v124, v27, v124                              // 000000004258: 0AF8F91B
	v_mul_f32_e32 v125, v27, v125                              // 00000000425C: 0AFAFB1B
	v_mul_f32_e32 v126, v27, v126                              // 000000004260: 0AFCFD1B
	v_mul_f32_e32 v127, v27, v127                              // 000000004264: 0AFEFF1B
	v_mul_f32_e32 v128, v27, v128                              // 000000004268: 0B01011B
	v_mul_f32_e32 v129, v27, v129                              // 00000000426C: 0B03031B
	v_mul_f32_e32 v130, v27, v130                              // 000000004270: 0B05051B
	v_mul_f32_e32 v131, v27, v131                              // 000000004274: 0B07071B
	v_mul_f32_e32 v132, v27, v132                              // 000000004278: 0B09091B
	v_mul_f32_e32 v133, v27, v133                              // 00000000427C: 0B0B0B1B
	v_mul_f32_e32 v134, v27, v134                              // 000000004280: 0B0D0D1B
	v_mul_f32_e32 v135, v27, v135                              // 000000004284: 0B0F0F1B
	v_mul_f32_e32 v136, v27, v136                              // 000000004288: 0B11111B
	v_mul_f32_e32 v137, v27, v137                              // 00000000428C: 0B13131B
	v_mul_f32_e32 v138, v27, v138                              // 000000004290: 0B15151B
	v_mul_f32_e32 v139, v27, v139                              // 000000004294: 0B17171B
	v_mul_f32_e32 v140, v27, v140                              // 000000004298: 0B19191B
	v_mul_f32_e32 v141, v27, v141                              // 00000000429C: 0B1B1B1B
	v_mul_f32_e32 v142, v27, v142                              // 0000000042A0: 0B1D1D1B
	v_mul_f32_e32 v143, v27, v143                              // 0000000042A4: 0B1F1F1B
	v_mul_f32_e32 v144, v27, v144                              // 0000000042A8: 0B21211B
	v_mul_f32_e32 v145, v27, v145                              // 0000000042AC: 0B23231B
	v_mul_f32_e32 v146, v27, v146                              // 0000000042B0: 0B25251B
	v_mul_f32_e32 v147, v27, v147                              // 0000000042B4: 0B27271B
	v_mul_f32_e32 v148, v27, v148                              // 0000000042B8: 0B29291B
	v_mul_f32_e32 v149, v27, v149                              // 0000000042BC: 0B2B2B1B
	v_mul_f32_e32 v150, v27, v150                              // 0000000042C0: 0B2D2D1B
	v_mul_f32_e32 v151, v27, v151                              // 0000000042C4: 0B2F2F1B
	v_mul_f32_e32 v152, v27, v152                              // 0000000042C8: 0B31311B
	v_mul_f32_e32 v153, v27, v153                              // 0000000042CC: 0B33331B
	v_mul_f32_e32 v154, v27, v154                              // 0000000042D0: 0B35351B
	v_mul_f32_e32 v155, v27, v155                              // 0000000042D4: 0B37371B
	v_mul_f32_e32 v156, v27, v156                              // 0000000042D8: 0B39391B
	v_mul_f32_e32 v157, v27, v157                              // 0000000042DC: 0B3B3B1B
	v_mul_f32_e32 v158, v27, v158                              // 0000000042E0: 0B3D3D1B
	v_mul_f32_e32 v159, v27, v159                              // 0000000042E4: 0B3F3F1B
	v_mul_f32_e32 v160, v27, v160                              // 0000000042E8: 0B41411B
	v_mul_f32_e32 v161, v27, v161                              // 0000000042EC: 0B43431B
	v_mul_f32_e32 v162, v27, v162                              // 0000000042F0: 0B45451B
	v_mul_f32_e32 v163, v27, v163                              // 0000000042F4: 0B47471B
	v_mul_f32_e32 v164, v27, v164                              // 0000000042F8: 0B49491B
	v_mul_f32_e32 v165, v27, v165                              // 0000000042FC: 0B4B4B1B
	v_mul_f32_e32 v166, v27, v166                              // 000000004300: 0B4D4D1B
	v_mul_f32_e32 v167, v27, v167                              // 000000004304: 0B4F4F1B
	v_mul_f32_e32 v168, v27, v168                              // 000000004308: 0B51511B
	v_mul_f32_e32 v169, v27, v169                              // 00000000430C: 0B53531B
	v_mul_f32_e32 v170, v27, v170                              // 000000004310: 0B55551B
	v_mul_f32_e32 v171, v27, v171                              // 000000004314: 0B57571B
	v_mul_f32_e32 v172, v27, v172                              // 000000004318: 0B59591B
	v_mul_f32_e32 v173, v27, v173                              // 00000000431C: 0B5B5B1B
	v_mul_f32_e32 v174, v27, v174                              // 000000004320: 0B5D5D1B
	v_mul_f32_e32 v175, v27, v175                              // 000000004324: 0B5F5F1B
	v_mul_f32_e32 v176, v27, v176                              // 000000004328: 0B61611B
	v_mul_f32_e32 v177, v27, v177                              // 00000000432C: 0B63631B
	v_mul_f32_e32 v178, v27, v178                              // 000000004330: 0B65651B
	v_mul_f32_e32 v179, v27, v179                              // 000000004334: 0B67671B
	s_waitcnt lgkmcnt(0)                                       // 000000004338: BF8CC07F
	v_mfma_f32_32x32x64_f8f6f4 v[52:67], a[120:127], v[36:43], v[52:67]// 00000000433C: D3AE0034 0CD24978
	v_mfma_f32_32x32x64_f8f6f4 v[68:83], a[128:135], v[36:43], v[68:83]// 000000004344: D3AE0044 0D124980
	v_mfma_f32_32x32x64_f8f6f4 v[84:99], a[136:143], v[36:43], v[84:99]// 00000000434C: D3AE0054 0D524988
	v_mfma_f32_32x32x64_f8f6f4 v[100:115], a[144:151], v[36:43], v[100:115]// 000000004354: D3AE0064 0D924990
	v_mfma_f32_32x32x64_f8f6f4 v[116:131], a[152:159], v[36:43], v[116:131]// 00000000435C: D3AE0074 0DD24998
	v_mfma_f32_32x32x64_f8f6f4 v[132:147], a[160:167], v[36:43], v[132:147]// 000000004364: D3AE0084 0E1249A0
	v_mfma_f32_32x32x64_f8f6f4 v[148:163], a[168:175], v[36:43], v[148:163]// 00000000436C: D3AE0094 0E5249A8
	v_mfma_f32_32x32x64_f8f6f4 v[164:179], a[176:183], v[36:43], v[164:179]// 000000004374: D3AE00A4 0E9249B0
	s_waitcnt lgkmcnt(0)                                       // 00000000437C: BF8CC07F
	s_waitcnt vmcnt(10)                                        // 000000004380: BF8C0F7A
	s_barrier                                                  // 000000004384: BF8A0000
	ds_read_b128 a[40:43], v20                                 // 000000004388: DBFE0000 28000014
	ds_read_b128 a[44:47], v20 offset:1024                     // 000000004390: DBFE0400 2C000014
	ds_read_b128 a[48:51], v20 offset:2048                     // 000000004398: DBFE0800 30000014
	ds_read_b128 a[52:55], v20 offset:3072                     // 0000000043A0: DBFE0C00 34000014
	ds_read_b128 a[56:59], v20 offset:4096                     // 0000000043A8: DBFE1000 38000014
	ds_read_b128 a[60:63], v20 offset:5120                     // 0000000043B0: DBFE1400 3C000014
	ds_read_b128 a[64:67], v20 offset:6144                     // 0000000043B8: DBFE1800 40000014
	ds_read_b128 a[68:71], v20 offset:7168                     // 0000000043C0: DBFE1C00 44000014
	ds_read_b128 a[72:75], v20 offset:8192                     // 0000000043C8: DBFE2000 48000014
	ds_read_b128 a[80:83], v20 offset:9216                     // 0000000043D0: DBFE2400 50000014
	ds_read_b128 a[84:87], v20 offset:10240                    // 0000000043D8: DBFE2800 54000014
	ds_read_b128 a[88:91], v20 offset:11264                    // 0000000043E0: DBFE2C00 58000014
	ds_read_b128 a[92:95], v20 offset:12288                    // 0000000043E8: DBFE3000 5C000014
	ds_read_b128 a[96:99], v20 offset:13312                    // 0000000043F0: DBFE3400 60000014
	ds_read_b128 a[100:103], v20 offset:14336                  // 0000000043F8: DBFE3800 64000014
	ds_read_b128 a[104:107], v20 offset:15360                  // 000000004400: DBFE3C00 68000014
	ds_read_b128 a[108:111], v20 offset:16384                  // 000000004408: DBFE4000 6C000014
	ds_read_b128 a[112:115], v20 offset:17408                  // 000000004410: DBFE4400 70000014
	s_addk_i32 s70, 0x1                                        // 000000004418: B7460001
	s_cmp_lt_i32 s70, s71                                      // 00000000441C: BF044746
	s_cbranch_scc0 label_2A2C                                  // 000000004420: BF840282
	s_waitcnt lgkmcnt(4)                                       // 000000004424: BF8CC47F
	v_mfma_f32_16x16x128_f8f6f4 v[36:39], a[40:47], a[0:7], 0  // 000000004428: D3AD0024 1A020128
	v_mul_u32_u24_e64 v30, v24, s68                            // 000000004430: D108001E 00008918
	v_add_u32_e32 v30, v30, v1                                 // 000000004438: 683C031E
	buffer_load_dword v23, v26, s[24:27], 0 offen              // 00000000443C: E0501000 8006171A
	ds_read_b128 a[40:43], v20 offset:18432                    // 000000004444: DBFE4800 28000014
	v_mfma_f32_16x16x128_f8f6f4 v[36:39], a[48:55], a[8:15], v[36:39]// 00000000444C: D3AD0024 1C921130
	s_mov_b32 s56, 0x1d000                                     // 000000004454: BEB800FF 0001D000
	s_mul_i32 s57, s7, 0x2400                                  // 00000000445C: 9239FF07 00002400
	s_add_u32 m0, s56, s57                                     // 000000004464: 807C3938
	buffer_load_dwordx4 v30, s[20:23], 0 offen lds             // 000000004468: E05D1000 8005001E
	s_add_i32 m0, m0, 0x3c0                                    // 000000004470: 817CFF7C 000003C0
	v_mfma_f32_16x16x128_f8f6f4 v[36:39], a[56:63], a[16:23], v[36:39]// 000000004478: D3AD0024 1C922138
	ds_read_b128 a[44:47], v20 offset:19456                    // 000000004480: DBFE4C00 2C000014
	v_mfma_f32_16x16x128_f8f6f4 v[36:39], a[64:71], a[24:31], v[36:39]// 000000004488: D3AD0024 1C923140
	buffer_load_dwordx4 v30, s[20:23], 0 offen offset:64 lds   // 000000004490: E05D1040 8005001E
	s_add_i32 m0, m0, 0x3c0                                    // 000000004498: 817CFF7C 000003C0
	v_mfma_f32_16x16x128_f8f6f4 v[36:39], a[72:79], a[32:39], v[36:39]// 0000000044A0: D3AD0024 1C924148
	ds_read_b128 a[48:51], v20 offset:20480                    // 0000000044A8: DBFE5000 30000014
	v_mfma_f32_16x16x128_f8f6f4 v[40:43], a[80:87], a[0:7], 0  // 0000000044B0: D3AD0028 1A020150
	buffer_load_dwordx4 v30, s[20:23], 0 offen offset:128 lds  // 0000000044B8: E05D1080 8005001E
	s_add_i32 m0, m0, 0x3c0                                    // 0000000044C0: 817CFF7C 000003C0
	v_mfma_f32_16x16x128_f8f6f4 v[40:43], a[88:95], a[8:15], v[40:43]// 0000000044C8: D3AD0028 1CA21158
	ds_read_b128 a[52:55], v20 offset:21504                    // 0000000044D0: DBFE5400 34000014
	v_mfma_f32_16x16x128_f8f6f4 v[40:43], a[96:103], a[16:23], v[40:43]// 0000000044D8: D3AD0028 1CA22160
	buffer_load_dwordx4 v30, s[20:23], 0 offen offset:192 lds  // 0000000044E0: E05D10C0 8005001E
	s_add_i32 m0, m0, 0x3c0                                    // 0000000044E8: 817CFF7C 000003C0
	v_mfma_f32_16x16x128_f8f6f4 v[40:43], a[104:111], a[24:31], v[40:43]// 0000000044F0: D3AD0028 1CA23168
	ds_read_b128 a[56:59], v20 offset:22528                    // 0000000044F8: DBFE5800 38000014
	v_mfma_f32_16x16x128_f8f6f4 v[40:43], a[112:119], a[32:39], v[40:43]// 000000004500: D3AD0028 1CA24170
	buffer_load_dwordx4 v30, s[20:23], 0 offen offset:256 lds  // 000000004508: E05D1100 8005001E
	s_add_i32 m0, m0, 0x3c0                                    // 000000004510: 817CFF7C 000003C0
	buffer_load_dwordx4 v30, s[20:23], 0 offen offset:320 lds  // 000000004518: E05D1140 8005001E
	s_add_i32 m0, m0, 0x3c0                                    // 000000004520: 817CFF7C 000003C0
	buffer_load_dwordx4 v30, s[20:23], 0 offen offset:384 lds  // 000000004528: E05D1180 8005001E
	s_add_i32 m0, m0, 0x3c0                                    // 000000004530: 817CFF7C 000003C0
	buffer_load_dwordx4 v30, s[20:23], 0 offen offset:448 lds  // 000000004538: E05D11C0 8005001E
	s_add_i32 m0, m0, 0x3c0                                    // 000000004540: 817CFF7C 000003C0
	buffer_load_dwordx4 v30, s[20:23], 0 offen offset:512 lds  // 000000004548: E05D1200 8005001E
	s_add_i32 m0, m0, 0x3c0                                    // 000000004550: 817CFF7C 000003C0
	ds_read_b128 a[60:63], v20 offset:23552                    // 000000004558: DBFE5C00 3C000014
	ds_read_b128 a[64:67], v20 offset:24576                    // 000000004560: DBFE6000 40000014
	ds_read_b128 a[68:71], v20 offset:25600                    // 000000004568: DBFE6400 44000014
	ds_read_b128 a[72:75], v20 offset:26624                    // 000000004570: DBFE6800 48000014
	ds_read_b128 a[80:83], v20 offset:27648                    // 000000004578: DBFE6C00 50000014
	ds_read_b128 a[84:87], v20 offset:28672                    // 000000004580: DBFE7000 54000014
	ds_read_b128 a[88:91], v20 offset:29696                    // 000000004588: DBFE7400 58000014
	ds_read_b128 a[92:95], v20 offset:30720                    // 000000004590: DBFE7800 5C000014
	ds_read_b128 a[96:99], v20 offset:31744                    // 000000004598: DBFE7C00 60000014
	ds_read_b128 a[100:103], v20 offset:32768                  // 0000000045A0: DBFE8000 64000014
	ds_read_b128 a[104:107], v20 offset:33792                  // 0000000045A8: DBFE8400 68000014
	ds_read_b128 a[108:111], v20 offset:34816                  // 0000000045B0: DBFE8800 6C000014
	ds_read_b128 a[112:115], v20 offset:35840                  // 0000000045B8: DBFE8C00 70000014
	v_add_u32_e32 v26, s73, v26                                // 0000000045C0: 68343449
	s_waitcnt lgkmcnt(4)                                       // 0000000045C4: BF8CC47F
	v_mfma_f32_16x16x128_f8f6f4 v[44:47], a[40:47], a[0:7], 0  // 0000000045C8: D3AD002C 1A020128
	ds_read_b64_tr_b8 a[120:121], v6                           // 0000000045D0: DBC40000 78000006
	ds_read_b64_tr_b8 a[122:123], v7                           // 0000000045D8: DBC40000 7A000007
	ds_read_b64_tr_b8 a[124:125], v6 offset:18432              // 0000000045E0: DBC44800 7C000006
	ds_read_b64_tr_b8 a[126:127], v7 offset:18432              // 0000000045E8: DBC44800 7E000007
	v_mfma_f32_16x16x128_f8f6f4 v[44:47], a[48:55], a[8:15], v[44:47]// 0000000045F0: D3AD002C 1CB21130
	v_mfma_f32_16x16x128_f8f6f4 v[44:47], a[56:63], a[16:23], v[44:47]// 0000000045F8: D3AD002C 1CB22138
	ds_read_b64_tr_b8 a[128:129], v8                           // 000000004600: DBC40000 80000008
	ds_read_b64_tr_b8 a[130:131], v9                           // 000000004608: DBC40000 82000009
	ds_read_b64_tr_b8 a[132:133], v8 offset:18432              // 000000004610: DBC44800 84000008
	ds_read_b64_tr_b8 a[134:135], v9 offset:18432              // 000000004618: DBC44800 86000009
	v_mfma_f32_16x16x128_f8f6f4 v[44:47], a[64:71], a[24:31], v[44:47]// 000000004620: D3AD002C 1CB23140
	v_mfma_f32_16x16x128_f8f6f4 v[44:47], a[72:79], a[32:39], v[44:47]// 000000004628: D3AD002C 1CB24148
	ds_read_b64_tr_b8 a[136:137], v6 offset:1024               // 000000004630: DBC40400 88000006
	ds_read_b64_tr_b8 a[138:139], v7 offset:1024               // 000000004638: DBC40400 8A000007
	ds_read_b64_tr_b8 a[140:141], v6 offset:19456              // 000000004640: DBC44C00 8C000006
	ds_read_b64_tr_b8 a[142:143], v7 offset:19456              // 000000004648: DBC44C00 8E000007
	v_mfma_f32_16x16x128_f8f6f4 v[48:51], a[80:87], a[0:7], 0  // 000000004650: D3AD0030 1A020150
	v_mfma_f32_16x16x128_f8f6f4 v[48:51], a[88:95], a[8:15], v[48:51]// 000000004658: D3AD0030 1CC21158
	ds_read_b64_tr_b8 a[144:145], v8 offset:1024               // 000000004660: DBC40400 90000008
	ds_read_b64_tr_b8 a[146:147], v9 offset:1024               // 000000004668: DBC40400 92000009
	ds_read_b64_tr_b8 a[148:149], v8 offset:19456              // 000000004670: DBC44C00 94000008
	ds_read_b64_tr_b8 a[150:151], v9 offset:19456              // 000000004678: DBC44C00 96000009
	v_mfma_f32_16x16x128_f8f6f4 v[48:51], a[96:103], a[16:23], v[48:51]// 000000004680: D3AD0030 1CC22160
	v_mfma_f32_16x16x128_f8f6f4 v[48:51], a[104:111], a[24:31], v[48:51]// 000000004688: D3AD0030 1CC23168
	ds_read_b64_tr_b8 a[152:153], v6 offset:2048               // 000000004690: DBC40800 98000006
	ds_read_b64_tr_b8 a[154:155], v7 offset:2048               // 000000004698: DBC40800 9A000007
	ds_read_b64_tr_b8 a[156:157], v6 offset:20480              // 0000000046A0: DBC45000 9C000006
	ds_read_b64_tr_b8 a[158:159], v7 offset:20480              // 0000000046A8: DBC45000 9E000007
	v_mfma_f32_16x16x128_f8f6f4 v[48:51], a[112:119], a[32:39], v[48:51]// 0000000046B0: D3AD0030 1CC24170
	ds_read_b64_tr_b8 a[160:161], v8 offset:2048               // 0000000046B8: DBC40800 A0000008
	ds_read_b64_tr_b8 a[162:163], v9 offset:2048               // 0000000046C0: DBC40800 A2000009
	ds_read_b64_tr_b8 a[164:165], v8 offset:20480              // 0000000046C8: DBC45000 A4000008
	ds_read_b64_tr_b8 a[166:167], v9 offset:20480              // 0000000046D0: DBC45000 A6000009
	ds_read_b64_tr_b8 a[168:169], v6 offset:3072               // 0000000046D8: DBC40C00 A8000006
	ds_read_b64_tr_b8 a[170:171], v7 offset:3072               // 0000000046E0: DBC40C00 AA000007
	ds_read_b64_tr_b8 a[172:173], v6 offset:21504              // 0000000046E8: DBC45400 AC000006
	ds_read_b64_tr_b8 a[174:175], v7 offset:21504              // 0000000046F0: DBC45400 AE000007
	ds_read_b64_tr_b8 a[176:177], v8 offset:3072               // 0000000046F8: DBC40C00 B0000008
	ds_read_b64_tr_b8 a[178:179], v9 offset:3072               // 000000004700: DBC40C00 B2000009
	ds_read_b64_tr_b8 a[180:181], v8 offset:21504              // 000000004708: DBC45400 B4000008
	ds_read_b64_tr_b8 a[182:183], v9 offset:21504              // 000000004710: DBC45400 B6000009
	s_cmp_le_i32 s83, s82                                      // 000000004718: BF055253
	s_cbranch_scc1 label_24CC                                  // 00000000471C: BF85006B
	v_mov_b32_e32 v27, s82                                     // 000000004720: 7E360252
	v_add_u32_e32 v27, s7, v27                                 // 000000004724: 68363607
	s_sub_u32 s56, s83, 63                                     // 000000004728: 80B8BF53
	v_lshrrev_b32_e32 v20, 4, v0                               // 00000000472C: 20280084
	v_mul_i32_i24_e32 v20, 4, v20                              // 000000004730: 0C282884
	v_add_u32_e32 v20, s56, v20                                // 000000004734: 68282838
	v_add_u32_e32 v21, 1, v20                                  // 000000004738: 682A2881
	v_add_u32_e32 v22, 2, v20                                  // 00000000473C: 682C2882
	v_add_u32_e32 v23, 3, v20                                  // 000000004740: 682E2883
	v_mov_b32_e32 v28, 0xff800000                              // 000000004744: 7E3802FF FF800000
	v_cmp_le_u32_e64 s[36:37], v20, v27                        // 00000000474C: D0CB0024 00023714
	v_add_u32_e32 v20, 16, v20                                 // 000000004754: 68282890
	s_nop 0                                                    // 000000004758: BF800000
	v_cndmask_b32_e64 v36, v28, v36, s[36:37]                  // 00000000475C: D1000024 0092491C
	v_cmp_le_u32_e64 s[36:37], v21, v27                        // 000000004764: D0CB0024 00023715
	v_add_u32_e32 v21, 16, v21                                 // 00000000476C: 682A2A90
	s_nop 0                                                    // 000000004770: BF800000
	v_cndmask_b32_e64 v37, v28, v37, s[36:37]                  // 000000004774: D1000025 00924B1C
	v_cmp_le_u32_e64 s[36:37], v22, v27                        // 00000000477C: D0CB0024 00023716
	v_add_u32_e32 v22, 16, v22                                 // 000000004784: 682C2C90
	s_nop 0                                                    // 000000004788: BF800000
	v_cndmask_b32_e64 v38, v28, v38, s[36:37]                  // 00000000478C: D1000026 00924D1C
	v_cmp_le_u32_e64 s[36:37], v23, v27                        // 000000004794: D0CB0024 00023717
	v_add_u32_e32 v23, 16, v23                                 // 00000000479C: 682E2E90
	s_nop 0                                                    // 0000000047A0: BF800000
	v_cndmask_b32_e64 v39, v28, v39, s[36:37]                  // 0000000047A4: D1000027 00924F1C
	v_cmp_le_u32_e64 s[36:37], v20, v27                        // 0000000047AC: D0CB0024 00023714
	v_add_u32_e32 v20, 16, v20                                 // 0000000047B4: 68282890
	s_nop 0                                                    // 0000000047B8: BF800000
	v_cndmask_b32_e64 v40, v28, v40, s[36:37]                  // 0000000047BC: D1000028 0092511C
	v_cmp_le_u32_e64 s[36:37], v21, v27                        // 0000000047C4: D0CB0024 00023715
	v_add_u32_e32 v21, 16, v21                                 // 0000000047CC: 682A2A90
	s_nop 0                                                    // 0000000047D0: BF800000
	v_cndmask_b32_e64 v41, v28, v41, s[36:37]                  // 0000000047D4: D1000029 0092531C
	v_cmp_le_u32_e64 s[36:37], v22, v27                        // 0000000047DC: D0CB0024 00023716
	v_add_u32_e32 v22, 16, v22                                 // 0000000047E4: 682C2C90
	s_nop 0                                                    // 0000000047E8: BF800000
	v_cndmask_b32_e64 v42, v28, v42, s[36:37]                  // 0000000047EC: D100002A 0092551C
	v_cmp_le_u32_e64 s[36:37], v23, v27                        // 0000000047F4: D0CB0024 00023717
	v_add_u32_e32 v23, 16, v23                                 // 0000000047FC: 682E2E90
	s_nop 0                                                    // 000000004800: BF800000
	v_cndmask_b32_e64 v43, v28, v43, s[36:37]                  // 000000004804: D100002B 0092571C
	v_cmp_le_u32_e64 s[36:37], v20, v27                        // 00000000480C: D0CB0024 00023714
	v_add_u32_e32 v20, 16, v20                                 // 000000004814: 68282890
	s_nop 0                                                    // 000000004818: BF800000
	v_cndmask_b32_e64 v44, v28, v44, s[36:37]                  // 00000000481C: D100002C 0092591C
	v_cmp_le_u32_e64 s[36:37], v21, v27                        // 000000004824: D0CB0024 00023715
	v_add_u32_e32 v21, 16, v21                                 // 00000000482C: 682A2A90
	s_nop 0                                                    // 000000004830: BF800000
	v_cndmask_b32_e64 v45, v28, v45, s[36:37]                  // 000000004834: D100002D 00925B1C
	v_cmp_le_u32_e64 s[36:37], v22, v27                        // 00000000483C: D0CB0024 00023716
	v_add_u32_e32 v22, 16, v22                                 // 000000004844: 682C2C90
	s_nop 0                                                    // 000000004848: BF800000
	v_cndmask_b32_e64 v46, v28, v46, s[36:37]                  // 00000000484C: D100002E 00925D1C
	v_cmp_le_u32_e64 s[36:37], v23, v27                        // 000000004854: D0CB0024 00023717
	v_add_u32_e32 v23, 16, v23                                 // 00000000485C: 682E2E90
	s_nop 0                                                    // 000000004860: BF800000
	v_cndmask_b32_e64 v47, v28, v47, s[36:37]                  // 000000004864: D100002F 00925F1C
	v_cmp_le_u32_e64 s[36:37], v20, v27                        // 00000000486C: D0CB0024 00023714
	v_add_u32_e32 v20, 16, v20                                 // 000000004874: 68282890
	s_nop 0                                                    // 000000004878: BF800000
	v_cndmask_b32_e64 v48, v28, v48, s[36:37]                  // 00000000487C: D1000030 0092611C
	v_cmp_le_u32_e64 s[36:37], v21, v27                        // 000000004884: D0CB0024 00023715
	v_add_u32_e32 v21, 16, v21                                 // 00000000488C: 682A2A90
	s_nop 0                                                    // 000000004890: BF800000
	v_cndmask_b32_e64 v49, v28, v49, s[36:37]                  // 000000004894: D1000031 0092631C
	v_cmp_le_u32_e64 s[36:37], v22, v27                        // 00000000489C: D0CB0024 00023716
	v_add_u32_e32 v22, 16, v22                                 // 0000000048A4: 682C2C90
	s_nop 0                                                    // 0000000048A8: BF800000
	v_cndmask_b32_e64 v50, v28, v50, s[36:37]                  // 0000000048AC: D1000032 0092651C
	v_cmp_le_u32_e64 s[36:37], v23, v27                        // 0000000048B4: D0CB0024 00023717
	v_add_u32_e32 v23, 16, v23                                 // 0000000048BC: 682E2E90
	s_nop 0                                                    // 0000000048C0: BF800000
	v_cndmask_b32_e64 v51, v28, v51, s[36:37]                  // 0000000048C4: D1000033 0092671C

00000000000048cc <label_24CC>:
	s_add_u32 s83, s84, s83                                    // 0000000048CC: 80535354
	s_nop 2                                                    // 0000000048D0: BF800002
	v_mov_b32_e32 v28, v36                                     // 0000000048D4: 7E380324
	v_max3_f32 v28, v36, v37, v28                              // 0000000048D8: D1D3001C 04724B24
	v_max3_f32 v28, v38, v39, v28                              // 0000000048E0: D1D3001C 04724F26
	v_max3_f32 v28, v40, v41, v28                              // 0000000048E8: D1D3001C 04725328
	v_max3_f32 v28, v42, v43, v28                              // 0000000048F0: D1D3001C 0472572A
	v_max3_f32 v28, v44, v45, v28                              // 0000000048F8: D1D3001C 04725B2C
	v_max3_f32 v28, v46, v47, v28                              // 000000004900: D1D3001C 04725F2E
	v_max3_f32 v28, v48, v49, v28                              // 000000004908: D1D3001C 04726330
	v_max3_f32 v28, v50, v51, v28                              // 000000004910: D1D3001C 04726732
	v_mov_b32_e32 v27, v28                                     // 000000004918: 7E36031C
	v_mov_b32_e32 v28, v28                                     // 00000000491C: 7E38031C
	s_nop 1                                                    // 000000004920: BF800001
	v_permlane16_swap_b32_e32 v27, v28                         // 000000004924: 7E36B31C
	v_mov_b32_e32 v30, v27                                     // 000000004928: 7E3C031B
	v_mov_b32_e32 v29, v28                                     // 00000000492C: 7E3A031C
	s_nop 1                                                    // 000000004930: BF800001
	v_permlane32_swap_b32_e32 v27, v28                         // 000000004934: 7E36B51C
	v_permlane32_swap_b32_e32 v29, v30                         // 000000004938: 7E3AB51E
	v_max3_f32 v28, v27, v28, v28                              // 00000000493C: D1D3001C 0472391B
	v_max3_f32 v28, v29, v30, v28                              // 000000004944: D1D3001C 04723D1D
	v_mov_b32_e32 v27, 0xff800000                              // 00000000494C: 7E3602FF FF800000
	v_cmp_eq_u32_e64 s[36:37], v27, v2                         // 000000004954: D0CA0024 0002051B
	v_max_f32_e32 v28, v28, v2                                 // 00000000495C: 1638051C
	v_sub_f32_e32 v18, v2, v28                                 // 000000004960: 04243902
	v_cndmask_b32_e64 v18, v18, 0, s[36:37]                    // 000000004964: D1000012 00910112
	v_mov_b32_e32 v2, v28                                      // 00000000496C: 7E04031C
	v_mul_f32_e32 v28, s5, v28                                 // 000000004970: 0A383805
	v_mul_f32_e32 v18, s5, v18                                 // 000000004974: 0A242405
	v_exp_f32_e32 v18, v18                                     // 000000004978: 7E244112
	v_fma_f32 v36, v36, s5, -v28                               // 00000000497C: D1CB0024 84700B24
	v_fma_f32 v37, v37, s5, -v28                               // 000000004984: D1CB0025 84700B25
	v_fma_f32 v38, v38, s5, -v28                               // 00000000498C: D1CB0026 84700B26
	v_fma_f32 v39, v39, s5, -v28                               // 000000004994: D1CB0027 84700B27
	v_fma_f32 v40, v40, s5, -v28                               // 00000000499C: D1CB0028 84700B28
	v_fma_f32 v41, v41, s5, -v28                               // 0000000049A4: D1CB0029 84700B29
	v_fma_f32 v42, v42, s5, -v28                               // 0000000049AC: D1CB002A 84700B2A
	v_fma_f32 v43, v43, s5, -v28                               // 0000000049B4: D1CB002B 84700B2B
	v_fma_f32 v44, v44, s5, -v28                               // 0000000049BC: D1CB002C 84700B2C
	v_fma_f32 v45, v45, s5, -v28                               // 0000000049C4: D1CB002D 84700B2D
	v_fma_f32 v46, v46, s5, -v28                               // 0000000049CC: D1CB002E 84700B2E
	v_fma_f32 v47, v47, s5, -v28                               // 0000000049D4: D1CB002F 84700B2F
	v_fma_f32 v48, v48, s5, -v28                               // 0000000049DC: D1CB0030 84700B30
	v_fma_f32 v49, v49, s5, -v28                               // 0000000049E4: D1CB0031 84700B31
	v_fma_f32 v50, v50, s5, -v28                               // 0000000049EC: D1CB0032 84700B32
	v_fma_f32 v51, v51, s5, -v28                               // 0000000049F4: D1CB0033 84700B33
	v_exp_f32_e32 v36, v36                                     // 0000000049FC: 7E484124
	v_exp_f32_e32 v37, v37                                     // 000000004A00: 7E4A4125
	v_exp_f32_e32 v38, v38                                     // 000000004A04: 7E4C4126
	v_exp_f32_e32 v39, v39                                     // 000000004A08: 7E4E4127
	v_exp_f32_e32 v40, v40                                     // 000000004A0C: 7E504128
	v_exp_f32_e32 v41, v41                                     // 000000004A10: 7E524129
	v_exp_f32_e32 v42, v42                                     // 000000004A14: 7E54412A
	v_exp_f32_e32 v43, v43                                     // 000000004A18: 7E56412B
	v_exp_f32_e32 v44, v44                                     // 000000004A1C: 7E58412C
	v_exp_f32_e32 v45, v45                                     // 000000004A20: 7E5A412D
	v_exp_f32_e32 v46, v46                                     // 000000004A24: 7E5C412E
	v_exp_f32_e32 v47, v47                                     // 000000004A28: 7E5E412F
	v_exp_f32_e32 v48, v48                                     // 000000004A2C: 7E604130
	v_exp_f32_e32 v49, v49                                     // 000000004A30: 7E624131
	v_exp_f32_e32 v50, v50                                     // 000000004A34: 7E644132
	v_exp_f32_e32 v51, v51                                     // 000000004A38: 7E664133
	v_mul_f32_e32 v4, v18, v4                                  // 000000004A3C: 0A080912
	v_mov_b32_e32 v27, v36                                     // 000000004A40: 7E360324
	v_add_f32_e32 v27, v37, v27                                // 000000004A44: 02363725
	v_add_f32_e32 v27, v38, v27                                // 000000004A48: 02363726
	v_add_f32_e32 v27, v39, v27                                // 000000004A4C: 02363727
	v_add_f32_e32 v27, v40, v27                                // 000000004A50: 02363728
	v_add_f32_e32 v27, v41, v27                                // 000000004A54: 02363729
	v_add_f32_e32 v27, v42, v27                                // 000000004A58: 0236372A
	v_add_f32_e32 v27, v43, v27                                // 000000004A5C: 0236372B
	v_add_f32_e32 v27, v44, v27                                // 000000004A60: 0236372C
	v_add_f32_e32 v27, v45, v27                                // 000000004A64: 0236372D
	v_add_f32_e32 v27, v46, v27                                // 000000004A68: 0236372E
	v_add_f32_e32 v27, v47, v27                                // 000000004A6C: 0236372F
	v_add_f32_e32 v27, v48, v27                                // 000000004A70: 02363730
	v_add_f32_e32 v27, v49, v27                                // 000000004A74: 02363731
	v_add_f32_e32 v27, v50, v27                                // 000000004A78: 02363732
	v_add_f32_e32 v27, v51, v27                                // 000000004A7C: 02363733
	v_add_f32_e32 v4, v27, v4                                  // 000000004A80: 0208091B
	v_cvt_pk_fp8_f32 v36, v36, v37                             // 000000004A84: D2A20024 00024B24
	v_cvt_pk_fp8_f32 v36, v38, v39 op_sel:[0,0,1]              // 000000004A8C: D2A24024 00024F26
	v_cvt_pk_fp8_f32 v37, v40, v41                             // 000000004A94: D2A20025 00025328
	v_cvt_pk_fp8_f32 v37, v42, v43 op_sel:[0,0,1]              // 000000004A9C: D2A24025 0002572A
	v_cvt_pk_fp8_f32 v38, v44, v45                             // 000000004AA4: D2A20026 00025B2C
	v_cvt_pk_fp8_f32 v38, v46, v47 op_sel:[0,0,1]              // 000000004AAC: D2A24026 00025F2E
	v_cvt_pk_fp8_f32 v39, v48, v49                             // 000000004AB4: D2A20027 00026330
	v_cvt_pk_fp8_f32 v39, v50, v51 op_sel:[0,0,1]              // 000000004ABC: D2A24027 00026732
	s_nop 0                                                    // 000000004AC4: BF800000
	v_permlane16_swap_b32_e32 v36, v37                         // 000000004AC8: 7E48B325
	v_permlane16_swap_b32_e32 v38, v39                         // 000000004ACC: 7E4CB327
	s_nop 0                                                    // 000000004AD0: BF800000
	v_permlane32_swap_b32_e32 v36, v38                         // 000000004AD4: 7E48B526
	v_permlane32_swap_b32_e32 v37, v39                         // 000000004AD8: 7E4AB527
	ds_write_b128 v32, v[36:39]                                // 000000004ADC: D9BE0000 00002420
	s_waitcnt lgkmcnt(0)                                       // 000000004AE4: BF8CC07F
	s_barrier                                                  // 000000004AE8: BF8A0000
	ds_read_b128 v[36:39], v33                                 // 000000004AEC: D9FE0000 24000021
	ds_read_b128 v[40:43], v33 offset:1024                     // 000000004AF4: D9FE0400 28000021
	s_waitcnt lgkmcnt(0)                                       // 000000004AFC: BF8CC07F
	v_permlane16_swap_b32_e32 v36, v40                         // 000000004B00: 7E48B328
	v_permlane16_swap_b32_e32 v37, v41                         // 000000004B04: 7E4AB329
	v_permlane16_swap_b32_e32 v38, v42                         // 000000004B08: 7E4CB32A
	v_permlane16_swap_b32_e32 v39, v43                         // 000000004B0C: 7E4EB32B
	v_permlane32_swap_b32_e32 v36, v40                         // 000000004B10: 7E48B528
	v_permlane32_swap_b32_e32 v37, v41                         // 000000004B14: 7E4AB529
	v_permlane32_swap_b32_e32 v38, v42                         // 000000004B18: 7E4CB52A
	v_permlane32_swap_b32_e32 v39, v43                         // 000000004B1C: 7E4EB52B
	ds_write_b32 v34, v18                                      // 000000004B20: D81A0000 00001222
	s_waitcnt lgkmcnt(0)                                       // 000000004B28: BF8CC07F
	s_barrier                                                  // 000000004B2C: BF8A0000
	ds_read_b32 v27, v35                                       // 000000004B30: D86C0000 1B000023
	s_waitcnt lgkmcnt(0)                                       // 000000004B38: BF8CC07F
	v_mul_f32_e32 v52, v27, v52                                // 000000004B3C: 0A68691B
	v_mul_f32_e32 v53, v27, v53                                // 000000004B40: 0A6A6B1B
	v_mul_f32_e32 v54, v27, v54                                // 000000004B44: 0A6C6D1B
	v_mul_f32_e32 v55, v27, v55                                // 000000004B48: 0A6E6F1B
	v_mul_f32_e32 v56, v27, v56                                // 000000004B4C: 0A70711B
	v_mul_f32_e32 v57, v27, v57                                // 000000004B50: 0A72731B
	v_mul_f32_e32 v58, v27, v58                                // 000000004B54: 0A74751B
	v_mul_f32_e32 v59, v27, v59                                // 000000004B58: 0A76771B
	v_mul_f32_e32 v60, v27, v60                                // 000000004B5C: 0A78791B
	v_mul_f32_e32 v61, v27, v61                                // 000000004B60: 0A7A7B1B
	v_mul_f32_e32 v62, v27, v62                                // 000000004B64: 0A7C7D1B
	v_mul_f32_e32 v63, v27, v63                                // 000000004B68: 0A7E7F1B
	v_mul_f32_e32 v64, v27, v64                                // 000000004B6C: 0A80811B
	v_mul_f32_e32 v65, v27, v65                                // 000000004B70: 0A82831B
	v_mul_f32_e32 v66, v27, v66                                // 000000004B74: 0A84851B
	v_mul_f32_e32 v67, v27, v67                                // 000000004B78: 0A86871B
	v_mul_f32_e32 v68, v27, v68                                // 000000004B7C: 0A88891B
	v_mul_f32_e32 v69, v27, v69                                // 000000004B80: 0A8A8B1B
	v_mul_f32_e32 v70, v27, v70                                // 000000004B84: 0A8C8D1B
	v_mul_f32_e32 v71, v27, v71                                // 000000004B88: 0A8E8F1B
	v_mul_f32_e32 v72, v27, v72                                // 000000004B8C: 0A90911B
	v_mul_f32_e32 v73, v27, v73                                // 000000004B90: 0A92931B
	v_mul_f32_e32 v74, v27, v74                                // 000000004B94: 0A94951B
	v_mul_f32_e32 v75, v27, v75                                // 000000004B98: 0A96971B
	v_mul_f32_e32 v76, v27, v76                                // 000000004B9C: 0A98991B
	v_mul_f32_e32 v77, v27, v77                                // 000000004BA0: 0A9A9B1B
	v_mul_f32_e32 v78, v27, v78                                // 000000004BA4: 0A9C9D1B
	v_mul_f32_e32 v79, v27, v79                                // 000000004BA8: 0A9E9F1B
	v_mul_f32_e32 v80, v27, v80                                // 000000004BAC: 0AA0A11B
	v_mul_f32_e32 v81, v27, v81                                // 000000004BB0: 0AA2A31B
	v_mul_f32_e32 v82, v27, v82                                // 000000004BB4: 0AA4A51B
	v_mul_f32_e32 v83, v27, v83                                // 000000004BB8: 0AA6A71B
	v_mul_f32_e32 v84, v27, v84                                // 000000004BBC: 0AA8A91B
	v_mul_f32_e32 v85, v27, v85                                // 000000004BC0: 0AAAAB1B
	v_mul_f32_e32 v86, v27, v86                                // 000000004BC4: 0AACAD1B
	v_mul_f32_e32 v87, v27, v87                                // 000000004BC8: 0AAEAF1B
	v_mul_f32_e32 v88, v27, v88                                // 000000004BCC: 0AB0B11B
	v_mul_f32_e32 v89, v27, v89                                // 000000004BD0: 0AB2B31B
	v_mul_f32_e32 v90, v27, v90                                // 000000004BD4: 0AB4B51B
	v_mul_f32_e32 v91, v27, v91                                // 000000004BD8: 0AB6B71B
	v_mul_f32_e32 v92, v27, v92                                // 000000004BDC: 0AB8B91B
	v_mul_f32_e32 v93, v27, v93                                // 000000004BE0: 0ABABB1B
	v_mul_f32_e32 v94, v27, v94                                // 000000004BE4: 0ABCBD1B
	v_mul_f32_e32 v95, v27, v95                                // 000000004BE8: 0ABEBF1B
	v_mul_f32_e32 v96, v27, v96                                // 000000004BEC: 0AC0C11B
	v_mul_f32_e32 v97, v27, v97                                // 000000004BF0: 0AC2C31B
	v_mul_f32_e32 v98, v27, v98                                // 000000004BF4: 0AC4C51B
	v_mul_f32_e32 v99, v27, v99                                // 000000004BF8: 0AC6C71B
	v_mul_f32_e32 v100, v27, v100                              // 000000004BFC: 0AC8C91B
	v_mul_f32_e32 v101, v27, v101                              // 000000004C00: 0ACACB1B
	v_mul_f32_e32 v102, v27, v102                              // 000000004C04: 0ACCCD1B
	v_mul_f32_e32 v103, v27, v103                              // 000000004C08: 0ACECF1B
	v_mul_f32_e32 v104, v27, v104                              // 000000004C0C: 0AD0D11B
	v_mul_f32_e32 v105, v27, v105                              // 000000004C10: 0AD2D31B
	v_mul_f32_e32 v106, v27, v106                              // 000000004C14: 0AD4D51B
	v_mul_f32_e32 v107, v27, v107                              // 000000004C18: 0AD6D71B
	v_mul_f32_e32 v108, v27, v108                              // 000000004C1C: 0AD8D91B
	v_mul_f32_e32 v109, v27, v109                              // 000000004C20: 0ADADB1B
	v_mul_f32_e32 v110, v27, v110                              // 000000004C24: 0ADCDD1B
	v_mul_f32_e32 v111, v27, v111                              // 000000004C28: 0ADEDF1B
	v_mul_f32_e32 v112, v27, v112                              // 000000004C2C: 0AE0E11B
	v_mul_f32_e32 v113, v27, v113                              // 000000004C30: 0AE2E31B
	v_mul_f32_e32 v114, v27, v114                              // 000000004C34: 0AE4E51B
	v_mul_f32_e32 v115, v27, v115                              // 000000004C38: 0AE6E71B
	v_mul_f32_e32 v116, v27, v116                              // 000000004C3C: 0AE8E91B
	v_mul_f32_e32 v117, v27, v117                              // 000000004C40: 0AEAEB1B
	v_mul_f32_e32 v118, v27, v118                              // 000000004C44: 0AECED1B
	v_mul_f32_e32 v119, v27, v119                              // 000000004C48: 0AEEEF1B
	v_mul_f32_e32 v120, v27, v120                              // 000000004C4C: 0AF0F11B
	v_mul_f32_e32 v121, v27, v121                              // 000000004C50: 0AF2F31B
	v_mul_f32_e32 v122, v27, v122                              // 000000004C54: 0AF4F51B
	v_mul_f32_e32 v123, v27, v123                              // 000000004C58: 0AF6F71B
	v_mul_f32_e32 v124, v27, v124                              // 000000004C5C: 0AF8F91B
	v_mul_f32_e32 v125, v27, v125                              // 000000004C60: 0AFAFB1B
	v_mul_f32_e32 v126, v27, v126                              // 000000004C64: 0AFCFD1B
	v_mul_f32_e32 v127, v27, v127                              // 000000004C68: 0AFEFF1B
	v_mul_f32_e32 v128, v27, v128                              // 000000004C6C: 0B01011B
	v_mul_f32_e32 v129, v27, v129                              // 000000004C70: 0B03031B
	v_mul_f32_e32 v130, v27, v130                              // 000000004C74: 0B05051B
	v_mul_f32_e32 v131, v27, v131                              // 000000004C78: 0B07071B
	v_mul_f32_e32 v132, v27, v132                              // 000000004C7C: 0B09091B
	v_mul_f32_e32 v133, v27, v133                              // 000000004C80: 0B0B0B1B
	v_mul_f32_e32 v134, v27, v134                              // 000000004C84: 0B0D0D1B
	v_mul_f32_e32 v135, v27, v135                              // 000000004C88: 0B0F0F1B
	v_mul_f32_e32 v136, v27, v136                              // 000000004C8C: 0B11111B
	v_mul_f32_e32 v137, v27, v137                              // 000000004C90: 0B13131B
	v_mul_f32_e32 v138, v27, v138                              // 000000004C94: 0B15151B
	v_mul_f32_e32 v139, v27, v139                              // 000000004C98: 0B17171B
	v_mul_f32_e32 v140, v27, v140                              // 000000004C9C: 0B19191B
	v_mul_f32_e32 v141, v27, v141                              // 000000004CA0: 0B1B1B1B
	v_mul_f32_e32 v142, v27, v142                              // 000000004CA4: 0B1D1D1B
	v_mul_f32_e32 v143, v27, v143                              // 000000004CA8: 0B1F1F1B
	v_mul_f32_e32 v144, v27, v144                              // 000000004CAC: 0B21211B
	v_mul_f32_e32 v145, v27, v145                              // 000000004CB0: 0B23231B
	v_mul_f32_e32 v146, v27, v146                              // 000000004CB4: 0B25251B
	v_mul_f32_e32 v147, v27, v147                              // 000000004CB8: 0B27271B
	v_mul_f32_e32 v148, v27, v148                              // 000000004CBC: 0B29291B
	v_mul_f32_e32 v149, v27, v149                              // 000000004CC0: 0B2B2B1B
	v_mul_f32_e32 v150, v27, v150                              // 000000004CC4: 0B2D2D1B
	v_mul_f32_e32 v151, v27, v151                              // 000000004CC8: 0B2F2F1B
	v_mul_f32_e32 v152, v27, v152                              // 000000004CCC: 0B31311B
	v_mul_f32_e32 v153, v27, v153                              // 000000004CD0: 0B33331B
	v_mul_f32_e32 v154, v27, v154                              // 000000004CD4: 0B35351B
	v_mul_f32_e32 v155, v27, v155                              // 000000004CD8: 0B37371B
	v_mul_f32_e32 v156, v27, v156                              // 000000004CDC: 0B39391B
	v_mul_f32_e32 v157, v27, v157                              // 000000004CE0: 0B3B3B1B
	v_mul_f32_e32 v158, v27, v158                              // 000000004CE4: 0B3D3D1B
	v_mul_f32_e32 v159, v27, v159                              // 000000004CE8: 0B3F3F1B
	v_mul_f32_e32 v160, v27, v160                              // 000000004CEC: 0B41411B
	v_mul_f32_e32 v161, v27, v161                              // 000000004CF0: 0B43431B
	v_mul_f32_e32 v162, v27, v162                              // 000000004CF4: 0B45451B
	v_mul_f32_e32 v163, v27, v163                              // 000000004CF8: 0B47471B
	v_mul_f32_e32 v164, v27, v164                              // 000000004CFC: 0B49491B
	v_mul_f32_e32 v165, v27, v165                              // 000000004D00: 0B4B4B1B
	v_mul_f32_e32 v166, v27, v166                              // 000000004D04: 0B4D4D1B
	v_mul_f32_e32 v167, v27, v167                              // 000000004D08: 0B4F4F1B
	v_mul_f32_e32 v168, v27, v168                              // 000000004D0C: 0B51511B
	v_mul_f32_e32 v169, v27, v169                              // 000000004D10: 0B53531B
	v_mul_f32_e32 v170, v27, v170                              // 000000004D14: 0B55551B
	v_mul_f32_e32 v171, v27, v171                              // 000000004D18: 0B57571B
	v_mul_f32_e32 v172, v27, v172                              // 000000004D1C: 0B59591B
	v_mul_f32_e32 v173, v27, v173                              // 000000004D20: 0B5B5B1B
	v_mul_f32_e32 v174, v27, v174                              // 000000004D24: 0B5D5D1B
	v_mul_f32_e32 v175, v27, v175                              // 000000004D28: 0B5F5F1B
	v_mul_f32_e32 v176, v27, v176                              // 000000004D2C: 0B61611B
	v_mul_f32_e32 v177, v27, v177                              // 000000004D30: 0B63631B
	v_mul_f32_e32 v178, v27, v178                              // 000000004D34: 0B65651B
	v_mul_f32_e32 v179, v27, v179                              // 000000004D38: 0B67671B
	s_waitcnt lgkmcnt(0)                                       // 000000004D3C: BF8CC07F
	v_mfma_f32_32x32x64_f8f6f4 v[52:67], a[120:127], v[36:43], v[52:67]// 000000004D40: D3AE0034 0CD24978
	v_mfma_f32_32x32x64_f8f6f4 v[68:83], a[128:135], v[36:43], v[68:83]// 000000004D48: D3AE0044 0D124980
	v_mfma_f32_32x32x64_f8f6f4 v[84:99], a[136:143], v[36:43], v[84:99]// 000000004D50: D3AE0054 0D524988
	v_mfma_f32_32x32x64_f8f6f4 v[100:115], a[144:151], v[36:43], v[100:115]// 000000004D58: D3AE0064 0D924990
	v_mfma_f32_32x32x64_f8f6f4 v[116:131], a[152:159], v[36:43], v[116:131]// 000000004D60: D3AE0074 0DD24998
	v_mfma_f32_32x32x64_f8f6f4 v[132:147], a[160:167], v[36:43], v[132:147]// 000000004D68: D3AE0084 0E1249A0
	v_mfma_f32_32x32x64_f8f6f4 v[148:163], a[168:175], v[36:43], v[148:163]// 000000004D70: D3AE0094 0E5249A8
	v_mfma_f32_32x32x64_f8f6f4 v[164:179], a[176:183], v[36:43], v[164:179]// 000000004D78: D3AE00A4 0E9249B0
	s_waitcnt lgkmcnt(0)                                       // 000000004D80: BF8CC07F
	s_waitcnt vmcnt(10)                                        // 000000004D84: BF8C0F7A
	s_barrier                                                  // 000000004D88: BF8A0000
	ds_read_b128 a[40:43], v21                                 // 000000004D8C: DBFE0000 28000015
	ds_read_b128 a[44:47], v21 offset:1024                     // 000000004D94: DBFE0400 2C000015
	ds_read_b128 a[48:51], v21 offset:2048                     // 000000004D9C: DBFE0800 30000015
	ds_read_b128 a[52:55], v21 offset:3072                     // 000000004DA4: DBFE0C00 34000015
	ds_read_b128 a[56:59], v21 offset:4096                     // 000000004DAC: DBFE1000 38000015
	ds_read_b128 a[60:63], v21 offset:5120                     // 000000004DB4: DBFE1400 3C000015
	ds_read_b128 a[64:67], v21 offset:6144                     // 000000004DBC: DBFE1800 40000015
	ds_read_b128 a[68:71], v21 offset:7168                     // 000000004DC4: DBFE1C00 44000015
	ds_read_b128 a[72:75], v21 offset:8192                     // 000000004DCC: DBFE2000 48000015
	ds_read_b128 a[80:83], v21 offset:9216                     // 000000004DD4: DBFE2400 50000015
	ds_read_b128 a[84:87], v21 offset:10240                    // 000000004DDC: DBFE2800 54000015
	ds_read_b128 a[88:91], v21 offset:11264                    // 000000004DE4: DBFE2C00 58000015
	ds_read_b128 a[92:95], v21 offset:12288                    // 000000004DEC: DBFE3000 5C000015
	ds_read_b128 a[96:99], v21 offset:13312                    // 000000004DF4: DBFE3400 60000015
	ds_read_b128 a[100:103], v21 offset:14336                  // 000000004DFC: DBFE3800 64000015
	ds_read_b128 a[104:107], v21 offset:15360                  // 000000004E04: DBFE3C00 68000015
	ds_read_b128 a[108:111], v21 offset:16384                  // 000000004E0C: DBFE4000 6C000015
	ds_read_b128 a[112:115], v21 offset:17408                  // 000000004E14: DBFE4400 70000015
	s_addk_i32 s70, 0x1                                        // 000000004E1C: B7460001
	s_cmp_lt_i32 s70, s71                                      // 000000004E20: BF044746
	s_cbranch_scc0 label_2A2C                                  // 000000004E24: BF840001
	s_branch label_0C1C                                        // 000000004E28: BF82F87C

0000000000004e2c <label_2A2C>:
	s_nop 0                                                    // 000000004E2C: BF800000
	s_nop 0                                                    // 000000004E30: BF800000
	s_branch label_4848                                        // 000000004E34: BF820784

0000000000004e38 <label_2A38>:
	s_waitcnt lgkmcnt(4)                                       // 000000004E38: BF8CC47F
	v_mfma_f32_16x16x128_f8f6f4 v[36:39], a[40:47], a[0:7], 0  // 000000004E3C: D3AD0024 1A020128
	v_mul_u32_u24_e64 v30, v25, s68                            // 000000004E44: D108001E 00008919
	v_add_u32_e32 v30, v30, v1                                 // 000000004E4C: 683C031E
	buffer_load_dword v24, v26, s[24:27], 0 offen              // 000000004E50: E0501000 8006181A
	ds_read_b128 a[40:43], v21 offset:18432                    // 000000004E58: DBFE4800 28000015
	v_mfma_f32_16x16x128_f8f6f4 v[36:39], a[48:55], a[8:15], v[36:39]// 000000004E60: D3AD0024 1C921130
	s_mov_b32 s56, 0xb000                                      // 000000004E68: BEB800FF 0000B000
	s_mul_i32 s57, s7, 0x2400                                  // 000000004E70: 9239FF07 00002400
	s_add_u32 m0, s56, s57                                     // 000000004E78: 807C3938
	buffer_load_dwordx4 v30, s[20:23], 0 offen lds             // 000000004E7C: E05D1000 8005001E
	s_add_i32 m0, m0, 0x3c0                                    // 000000004E84: 817CFF7C 000003C0
	v_mfma_f32_16x16x128_f8f6f4 v[36:39], a[56:63], a[16:23], v[36:39]// 000000004E8C: D3AD0024 1C922138
	ds_read_b128 a[44:47], v21 offset:19456                    // 000000004E94: DBFE4C00 2C000015
	v_mfma_f32_16x16x128_f8f6f4 v[36:39], a[64:71], a[24:31], v[36:39]// 000000004E9C: D3AD0024 1C923140
	buffer_load_dwordx4 v30, s[20:23], 0 offen offset:64 lds   // 000000004EA4: E05D1040 8005001E
	s_add_i32 m0, m0, 0x3c0                                    // 000000004EAC: 817CFF7C 000003C0
	v_mfma_f32_16x16x128_f8f6f4 v[36:39], a[72:79], a[32:39], v[36:39]// 000000004EB4: D3AD0024 1C924148
	ds_read_b128 a[48:51], v21 offset:20480                    // 000000004EBC: DBFE5000 30000015
	v_mfma_f32_16x16x128_f8f6f4 v[40:43], a[80:87], a[0:7], 0  // 000000004EC4: D3AD0028 1A020150
	buffer_load_dwordx4 v30, s[20:23], 0 offen offset:128 lds  // 000000004ECC: E05D1080 8005001E
	s_add_i32 m0, m0, 0x3c0                                    // 000000004ED4: 817CFF7C 000003C0
	v_mfma_f32_16x16x128_f8f6f4 v[40:43], a[88:95], a[8:15], v[40:43]// 000000004EDC: D3AD0028 1CA21158
	ds_read_b128 a[52:55], v21 offset:21504                    // 000000004EE4: DBFE5400 34000015
	v_mfma_f32_16x16x128_f8f6f4 v[40:43], a[96:103], a[16:23], v[40:43]// 000000004EEC: D3AD0028 1CA22160
	buffer_load_dwordx4 v30, s[20:23], 0 offen offset:192 lds  // 000000004EF4: E05D10C0 8005001E
	s_add_i32 m0, m0, 0x3c0                                    // 000000004EFC: 817CFF7C 000003C0
	v_mfma_f32_16x16x128_f8f6f4 v[40:43], a[104:111], a[24:31], v[40:43]// 000000004F04: D3AD0028 1CA23168
	ds_read_b128 a[56:59], v21 offset:22528                    // 000000004F0C: DBFE5800 38000015
	v_mfma_f32_16x16x128_f8f6f4 v[40:43], a[112:119], a[32:39], v[40:43]// 000000004F14: D3AD0028 1CA24170
	buffer_load_dwordx4 v30, s[20:23], 0 offen offset:256 lds  // 000000004F1C: E05D1100 8005001E
	s_add_i32 m0, m0, 0x3c0                                    // 000000004F24: 817CFF7C 000003C0
	buffer_load_dwordx4 v30, s[20:23], 0 offen offset:320 lds  // 000000004F2C: E05D1140 8005001E
	s_add_i32 m0, m0, 0x3c0                                    // 000000004F34: 817CFF7C 000003C0
	buffer_load_dwordx4 v30, s[20:23], 0 offen offset:384 lds  // 000000004F3C: E05D1180 8005001E
	s_add_i32 m0, m0, 0x3c0                                    // 000000004F44: 817CFF7C 000003C0
	buffer_load_dwordx4 v30, s[20:23], 0 offen offset:448 lds  // 000000004F4C: E05D11C0 8005001E
	s_add_i32 m0, m0, 0x3c0                                    // 000000004F54: 817CFF7C 000003C0
	buffer_load_dwordx4 v30, s[20:23], 0 offen offset:512 lds  // 000000004F5C: E05D1200 8005001E
	s_add_i32 m0, m0, 0x3c0                                    // 000000004F64: 817CFF7C 000003C0
	ds_read_b128 a[60:63], v21 offset:23552                    // 000000004F6C: DBFE5C00 3C000015
	ds_read_b128 a[64:67], v21 offset:24576                    // 000000004F74: DBFE6000 40000015
	ds_read_b128 a[68:71], v21 offset:25600                    // 000000004F7C: DBFE6400 44000015
	ds_read_b128 a[72:75], v21 offset:26624                    // 000000004F84: DBFE6800 48000015
	ds_read_b128 a[80:83], v21 offset:27648                    // 000000004F8C: DBFE6C00 50000015
	ds_read_b128 a[84:87], v21 offset:28672                    // 000000004F94: DBFE7000 54000015
	ds_read_b128 a[88:91], v21 offset:29696                    // 000000004F9C: DBFE7400 58000015
	ds_read_b128 a[92:95], v21 offset:30720                    // 000000004FA4: DBFE7800 5C000015
	ds_read_b128 a[96:99], v21 offset:31744                    // 000000004FAC: DBFE7C00 60000015
	ds_read_b128 a[100:103], v21 offset:32768                  // 000000004FB4: DBFE8000 64000015
	ds_read_b128 a[104:107], v21 offset:33792                  // 000000004FBC: DBFE8400 68000015
	ds_read_b128 a[108:111], v21 offset:34816                  // 000000004FC4: DBFE8800 6C000015
	ds_read_b128 a[112:115], v21 offset:35840                  // 000000004FCC: DBFE8C00 70000015
	v_add_u32_e32 v26, s73, v26                                // 000000004FD4: 68343449
	s_waitcnt lgkmcnt(4)                                       // 000000004FD8: BF8CC47F
	v_mfma_f32_16x16x128_f8f6f4 v[44:47], a[40:47], a[0:7], 0  // 000000004FDC: D3AD002C 1A020128
	ds_read_b64_tr_b8 a[120:121], v10                          // 000000004FE4: DBC40000 7800000A
	ds_read_b64_tr_b8 a[122:123], v11                          // 000000004FEC: DBC40000 7A00000B
	ds_read_b64_tr_b8 a[124:125], v10 offset:18432             // 000000004FF4: DBC44800 7C00000A
	ds_read_b64_tr_b8 a[126:127], v11 offset:18432             // 000000004FFC: DBC44800 7E00000B
	v_mfma_f32_16x16x128_f8f6f4 v[44:47], a[48:55], a[8:15], v[44:47]// 000000005004: D3AD002C 1CB21130
	v_mfma_f32_16x16x128_f8f6f4 v[44:47], a[56:63], a[16:23], v[44:47]// 00000000500C: D3AD002C 1CB22138
	ds_read_b64_tr_b8 a[128:129], v12                          // 000000005014: DBC40000 8000000C
	ds_read_b64_tr_b8 a[130:131], v13                          // 00000000501C: DBC40000 8200000D
	ds_read_b64_tr_b8 a[132:133], v12 offset:18432             // 000000005024: DBC44800 8400000C
	ds_read_b64_tr_b8 a[134:135], v13 offset:18432             // 00000000502C: DBC44800 8600000D
	v_mfma_f32_16x16x128_f8f6f4 v[44:47], a[64:71], a[24:31], v[44:47]// 000000005034: D3AD002C 1CB23140
	v_mfma_f32_16x16x128_f8f6f4 v[44:47], a[72:79], a[32:39], v[44:47]// 00000000503C: D3AD002C 1CB24148
	ds_read_b64_tr_b8 a[136:137], v10 offset:1024              // 000000005044: DBC40400 8800000A
	ds_read_b64_tr_b8 a[138:139], v11 offset:1024              // 00000000504C: DBC40400 8A00000B
	ds_read_b64_tr_b8 a[140:141], v10 offset:19456             // 000000005054: DBC44C00 8C00000A
	ds_read_b64_tr_b8 a[142:143], v11 offset:19456             // 00000000505C: DBC44C00 8E00000B
	v_mfma_f32_16x16x128_f8f6f4 v[48:51], a[80:87], a[0:7], 0  // 000000005064: D3AD0030 1A020150
	v_mfma_f32_16x16x128_f8f6f4 v[48:51], a[88:95], a[8:15], v[48:51]// 00000000506C: D3AD0030 1CC21158
	ds_read_b64_tr_b8 a[144:145], v12 offset:1024              // 000000005074: DBC40400 9000000C
	ds_read_b64_tr_b8 a[146:147], v13 offset:1024              // 00000000507C: DBC40400 9200000D
	ds_read_b64_tr_b8 a[148:149], v12 offset:19456             // 000000005084: DBC44C00 9400000C
	ds_read_b64_tr_b8 a[150:151], v13 offset:19456             // 00000000508C: DBC44C00 9600000D
	v_mfma_f32_16x16x128_f8f6f4 v[48:51], a[96:103], a[16:23], v[48:51]// 000000005094: D3AD0030 1CC22160
	v_mfma_f32_16x16x128_f8f6f4 v[48:51], a[104:111], a[24:31], v[48:51]// 00000000509C: D3AD0030 1CC23168
	ds_read_b64_tr_b8 a[152:153], v10 offset:2048              // 0000000050A4: DBC40800 9800000A
	ds_read_b64_tr_b8 a[154:155], v11 offset:2048              // 0000000050AC: DBC40800 9A00000B
	ds_read_b64_tr_b8 a[156:157], v10 offset:20480             // 0000000050B4: DBC45000 9C00000A
	ds_read_b64_tr_b8 a[158:159], v11 offset:20480             // 0000000050BC: DBC45000 9E00000B
	v_mfma_f32_16x16x128_f8f6f4 v[48:51], a[112:119], a[32:39], v[48:51]// 0000000050C4: D3AD0030 1CC24170
	ds_read_b64_tr_b8 a[160:161], v12 offset:2048              // 0000000050CC: DBC40800 A000000C
	ds_read_b64_tr_b8 a[162:163], v13 offset:2048              // 0000000050D4: DBC40800 A200000D
	ds_read_b64_tr_b8 a[164:165], v12 offset:20480             // 0000000050DC: DBC45000 A400000C
	ds_read_b64_tr_b8 a[166:167], v13 offset:20480             // 0000000050E4: DBC45000 A600000D
	ds_read_b64_tr_b8 a[168:169], v10 offset:3072              // 0000000050EC: DBC40C00 A800000A
	ds_read_b64_tr_b8 a[170:171], v11 offset:3072              // 0000000050F4: DBC40C00 AA00000B
	ds_read_b64_tr_b8 a[172:173], v10 offset:21504             // 0000000050FC: DBC45400 AC00000A
	ds_read_b64_tr_b8 a[174:175], v11 offset:21504             // 000000005104: DBC45400 AE00000B
	ds_read_b64_tr_b8 a[176:177], v12 offset:3072              // 00000000510C: DBC40C00 B000000C
	ds_read_b64_tr_b8 a[178:179], v13 offset:3072              // 000000005114: DBC40C00 B200000D
	ds_read_b64_tr_b8 a[180:181], v12 offset:21504             // 00000000511C: DBC45400 B400000C
	ds_read_b64_tr_b8 a[182:183], v13 offset:21504             // 000000005124: DBC45400 B600000D
	s_cmp_le_i32 s83, s82                                      // 00000000512C: BF055253
	s_cbranch_scc1 label_2EE0                                  // 000000005130: BF85006B
	v_mov_b32_e32 v27, s82                                     // 000000005134: 7E360252
	v_add_u32_e32 v27, s7, v27                                 // 000000005138: 68363607
	s_sub_u32 s56, s83, 63                                     // 00000000513C: 80B8BF53
	v_lshrrev_b32_e32 v20, 4, v0                               // 000000005140: 20280084
	v_mul_i32_i24_e32 v20, 4, v20                              // 000000005144: 0C282884
	v_add_u32_e32 v20, s56, v20                                // 000000005148: 68282838
	v_add_u32_e32 v21, 1, v20                                  // 00000000514C: 682A2881
	v_add_u32_e32 v22, 2, v20                                  // 000000005150: 682C2882
	v_add_u32_e32 v23, 3, v20                                  // 000000005154: 682E2883
	v_mov_b32_e32 v28, 0xff800000                              // 000000005158: 7E3802FF FF800000
	v_cmp_le_u32_e64 s[36:37], v20, v27                        // 000000005160: D0CB0024 00023714
	v_add_u32_e32 v20, 16, v20                                 // 000000005168: 68282890
	s_nop 0                                                    // 00000000516C: BF800000
	v_cndmask_b32_e64 v36, v28, v36, s[36:37]                  // 000000005170: D1000024 0092491C
	v_cmp_le_u32_e64 s[36:37], v21, v27                        // 000000005178: D0CB0024 00023715
	v_add_u32_e32 v21, 16, v21                                 // 000000005180: 682A2A90
	s_nop 0                                                    // 000000005184: BF800000
	v_cndmask_b32_e64 v37, v28, v37, s[36:37]                  // 000000005188: D1000025 00924B1C
	v_cmp_le_u32_e64 s[36:37], v22, v27                        // 000000005190: D0CB0024 00023716
	v_add_u32_e32 v22, 16, v22                                 // 000000005198: 682C2C90
	s_nop 0                                                    // 00000000519C: BF800000
	v_cndmask_b32_e64 v38, v28, v38, s[36:37]                  // 0000000051A0: D1000026 00924D1C
	v_cmp_le_u32_e64 s[36:37], v23, v27                        // 0000000051A8: D0CB0024 00023717
	v_add_u32_e32 v23, 16, v23                                 // 0000000051B0: 682E2E90
	s_nop 0                                                    // 0000000051B4: BF800000
	v_cndmask_b32_e64 v39, v28, v39, s[36:37]                  // 0000000051B8: D1000027 00924F1C
	v_cmp_le_u32_e64 s[36:37], v20, v27                        // 0000000051C0: D0CB0024 00023714
	v_add_u32_e32 v20, 16, v20                                 // 0000000051C8: 68282890
	s_nop 0                                                    // 0000000051CC: BF800000
	v_cndmask_b32_e64 v40, v28, v40, s[36:37]                  // 0000000051D0: D1000028 0092511C
	v_cmp_le_u32_e64 s[36:37], v21, v27                        // 0000000051D8: D0CB0024 00023715
	v_add_u32_e32 v21, 16, v21                                 // 0000000051E0: 682A2A90
	s_nop 0                                                    // 0000000051E4: BF800000
	v_cndmask_b32_e64 v41, v28, v41, s[36:37]                  // 0000000051E8: D1000029 0092531C
	v_cmp_le_u32_e64 s[36:37], v22, v27                        // 0000000051F0: D0CB0024 00023716
	v_add_u32_e32 v22, 16, v22                                 // 0000000051F8: 682C2C90
	s_nop 0                                                    // 0000000051FC: BF800000
	v_cndmask_b32_e64 v42, v28, v42, s[36:37]                  // 000000005200: D100002A 0092551C
	v_cmp_le_u32_e64 s[36:37], v23, v27                        // 000000005208: D0CB0024 00023717
	v_add_u32_e32 v23, 16, v23                                 // 000000005210: 682E2E90
	s_nop 0                                                    // 000000005214: BF800000
	v_cndmask_b32_e64 v43, v28, v43, s[36:37]                  // 000000005218: D100002B 0092571C
	v_cmp_le_u32_e64 s[36:37], v20, v27                        // 000000005220: D0CB0024 00023714
	v_add_u32_e32 v20, 16, v20                                 // 000000005228: 68282890
	s_nop 0                                                    // 00000000522C: BF800000
	v_cndmask_b32_e64 v44, v28, v44, s[36:37]                  // 000000005230: D100002C 0092591C
	v_cmp_le_u32_e64 s[36:37], v21, v27                        // 000000005238: D0CB0024 00023715
	v_add_u32_e32 v21, 16, v21                                 // 000000005240: 682A2A90
	s_nop 0                                                    // 000000005244: BF800000
	v_cndmask_b32_e64 v45, v28, v45, s[36:37]                  // 000000005248: D100002D 00925B1C
	v_cmp_le_u32_e64 s[36:37], v22, v27                        // 000000005250: D0CB0024 00023716
	v_add_u32_e32 v22, 16, v22                                 // 000000005258: 682C2C90
	s_nop 0                                                    // 00000000525C: BF800000
	v_cndmask_b32_e64 v46, v28, v46, s[36:37]                  // 000000005260: D100002E 00925D1C
	v_cmp_le_u32_e64 s[36:37], v23, v27                        // 000000005268: D0CB0024 00023717
	v_add_u32_e32 v23, 16, v23                                 // 000000005270: 682E2E90
	s_nop 0                                                    // 000000005274: BF800000
	v_cndmask_b32_e64 v47, v28, v47, s[36:37]                  // 000000005278: D100002F 00925F1C
	v_cmp_le_u32_e64 s[36:37], v20, v27                        // 000000005280: D0CB0024 00023714
	v_add_u32_e32 v20, 16, v20                                 // 000000005288: 68282890
	s_nop 0                                                    // 00000000528C: BF800000
	v_cndmask_b32_e64 v48, v28, v48, s[36:37]                  // 000000005290: D1000030 0092611C
	v_cmp_le_u32_e64 s[36:37], v21, v27                        // 000000005298: D0CB0024 00023715
	v_add_u32_e32 v21, 16, v21                                 // 0000000052A0: 682A2A90
	s_nop 0                                                    // 0000000052A4: BF800000
	v_cndmask_b32_e64 v49, v28, v49, s[36:37]                  // 0000000052A8: D1000031 0092631C
	v_cmp_le_u32_e64 s[36:37], v22, v27                        // 0000000052B0: D0CB0024 00023716
	v_add_u32_e32 v22, 16, v22                                 // 0000000052B8: 682C2C90
	s_nop 0                                                    // 0000000052BC: BF800000
	v_cndmask_b32_e64 v50, v28, v50, s[36:37]                  // 0000000052C0: D1000032 0092651C
	v_cmp_le_u32_e64 s[36:37], v23, v27                        // 0000000052C8: D0CB0024 00023717
	v_add_u32_e32 v23, 16, v23                                 // 0000000052D0: 682E2E90
	s_nop 0                                                    // 0000000052D4: BF800000
	v_cndmask_b32_e64 v51, v28, v51, s[36:37]                  // 0000000052D8: D1000033 0092671C

00000000000052e0 <label_2EE0>:
	s_add_u32 s83, s84, s83                                    // 0000000052E0: 80535354
	s_nop 2                                                    // 0000000052E4: BF800002
	v_mov_b32_e32 v28, v36                                     // 0000000052E8: 7E380324
	v_max3_f32 v28, v36, v37, v28                              // 0000000052EC: D1D3001C 04724B24
	v_max3_f32 v28, v38, v39, v28                              // 0000000052F4: D1D3001C 04724F26
	v_max3_f32 v28, v40, v41, v28                              // 0000000052FC: D1D3001C 04725328
	v_max3_f32 v28, v42, v43, v28                              // 000000005304: D1D3001C 0472572A
	v_max3_f32 v28, v44, v45, v28                              // 00000000530C: D1D3001C 04725B2C
	v_max3_f32 v28, v46, v47, v28                              // 000000005314: D1D3001C 04725F2E
	v_max3_f32 v28, v48, v49, v28                              // 00000000531C: D1D3001C 04726330
	v_max3_f32 v28, v50, v51, v28                              // 000000005324: D1D3001C 04726732
	v_mov_b32_e32 v27, v28                                     // 00000000532C: 7E36031C
	v_mov_b32_e32 v28, v28                                     // 000000005330: 7E38031C
	s_nop 1                                                    // 000000005334: BF800001
	v_permlane16_swap_b32_e32 v27, v28                         // 000000005338: 7E36B31C
	v_mov_b32_e32 v30, v27                                     // 00000000533C: 7E3C031B
	v_mov_b32_e32 v29, v28                                     // 000000005340: 7E3A031C
	s_nop 1                                                    // 000000005344: BF800001
	v_permlane32_swap_b32_e32 v27, v28                         // 000000005348: 7E36B51C
	v_permlane32_swap_b32_e32 v29, v30                         // 00000000534C: 7E3AB51E
	v_max3_f32 v28, v27, v28, v28                              // 000000005350: D1D3001C 0472391B
	v_max3_f32 v28, v29, v30, v28                              // 000000005358: D1D3001C 04723D1D
	v_mov_b32_e32 v27, 0xff800000                              // 000000005360: 7E3602FF FF800000
	v_cmp_eq_u32_e64 s[36:37], v27, v2                         // 000000005368: D0CA0024 0002051B
	v_max_f32_e32 v28, v28, v2                                 // 000000005370: 1638051C
	v_sub_f32_e32 v18, v2, v28                                 // 000000005374: 04243902
	v_cndmask_b32_e64 v18, v18, 0, s[36:37]                    // 000000005378: D1000012 00910112
	v_mov_b32_e32 v2, v28                                      // 000000005380: 7E04031C
	v_mul_f32_e32 v28, s5, v28                                 // 000000005384: 0A383805
	v_mul_f32_e32 v18, s5, v18                                 // 000000005388: 0A242405
	v_exp_f32_e32 v18, v18                                     // 00000000538C: 7E244112
	v_fma_f32 v36, v36, s5, -v28                               // 000000005390: D1CB0024 84700B24
	v_fma_f32 v37, v37, s5, -v28                               // 000000005398: D1CB0025 84700B25
	v_fma_f32 v38, v38, s5, -v28                               // 0000000053A0: D1CB0026 84700B26
	v_fma_f32 v39, v39, s5, -v28                               // 0000000053A8: D1CB0027 84700B27
	v_fma_f32 v40, v40, s5, -v28                               // 0000000053B0: D1CB0028 84700B28
	v_fma_f32 v41, v41, s5, -v28                               // 0000000053B8: D1CB0029 84700B29
	v_fma_f32 v42, v42, s5, -v28                               // 0000000053C0: D1CB002A 84700B2A
	v_fma_f32 v43, v43, s5, -v28                               // 0000000053C8: D1CB002B 84700B2B
	v_fma_f32 v44, v44, s5, -v28                               // 0000000053D0: D1CB002C 84700B2C
	v_fma_f32 v45, v45, s5, -v28                               // 0000000053D8: D1CB002D 84700B2D
	v_fma_f32 v46, v46, s5, -v28                               // 0000000053E0: D1CB002E 84700B2E
	v_fma_f32 v47, v47, s5, -v28                               // 0000000053E8: D1CB002F 84700B2F
	v_fma_f32 v48, v48, s5, -v28                               // 0000000053F0: D1CB0030 84700B30
	v_fma_f32 v49, v49, s5, -v28                               // 0000000053F8: D1CB0031 84700B31
	v_fma_f32 v50, v50, s5, -v28                               // 000000005400: D1CB0032 84700B32
	v_fma_f32 v51, v51, s5, -v28                               // 000000005408: D1CB0033 84700B33
	v_exp_f32_e32 v36, v36                                     // 000000005410: 7E484124
	v_exp_f32_e32 v37, v37                                     // 000000005414: 7E4A4125
	v_exp_f32_e32 v38, v38                                     // 000000005418: 7E4C4126
	v_exp_f32_e32 v39, v39                                     // 00000000541C: 7E4E4127
	v_exp_f32_e32 v40, v40                                     // 000000005420: 7E504128
	v_exp_f32_e32 v41, v41                                     // 000000005424: 7E524129
	v_exp_f32_e32 v42, v42                                     // 000000005428: 7E54412A
	v_exp_f32_e32 v43, v43                                     // 00000000542C: 7E56412B
	v_exp_f32_e32 v44, v44                                     // 000000005430: 7E58412C
	v_exp_f32_e32 v45, v45                                     // 000000005434: 7E5A412D
	v_exp_f32_e32 v46, v46                                     // 000000005438: 7E5C412E
	v_exp_f32_e32 v47, v47                                     // 00000000543C: 7E5E412F
	v_exp_f32_e32 v48, v48                                     // 000000005440: 7E604130
	v_exp_f32_e32 v49, v49                                     // 000000005444: 7E624131
	v_exp_f32_e32 v50, v50                                     // 000000005448: 7E644132
	v_exp_f32_e32 v51, v51                                     // 00000000544C: 7E664133
	v_mul_f32_e32 v4, v18, v4                                  // 000000005450: 0A080912
	v_mov_b32_e32 v27, v36                                     // 000000005454: 7E360324
	v_add_f32_e32 v27, v37, v27                                // 000000005458: 02363725
	v_add_f32_e32 v27, v38, v27                                // 00000000545C: 02363726
	v_add_f32_e32 v27, v39, v27                                // 000000005460: 02363727
	v_add_f32_e32 v27, v40, v27                                // 000000005464: 02363728
	v_add_f32_e32 v27, v41, v27                                // 000000005468: 02363729
	v_add_f32_e32 v27, v42, v27                                // 00000000546C: 0236372A
	v_add_f32_e32 v27, v43, v27                                // 000000005470: 0236372B
	v_add_f32_e32 v27, v44, v27                                // 000000005474: 0236372C
	v_add_f32_e32 v27, v45, v27                                // 000000005478: 0236372D
	v_add_f32_e32 v27, v46, v27                                // 00000000547C: 0236372E
	v_add_f32_e32 v27, v47, v27                                // 000000005480: 0236372F
	v_add_f32_e32 v27, v48, v27                                // 000000005484: 02363730
	v_add_f32_e32 v27, v49, v27                                // 000000005488: 02363731
	v_add_f32_e32 v27, v50, v27                                // 00000000548C: 02363732
	v_add_f32_e32 v27, v51, v27                                // 000000005490: 02363733
	v_add_f32_e32 v4, v27, v4                                  // 000000005494: 0208091B
	v_cvt_pk_fp8_f32 v36, v36, v37                             // 000000005498: D2A20024 00024B24
	v_cvt_pk_fp8_f32 v36, v38, v39 op_sel:[0,0,1]              // 0000000054A0: D2A24024 00024F26
	v_cvt_pk_fp8_f32 v37, v40, v41                             // 0000000054A8: D2A20025 00025328
	v_cvt_pk_fp8_f32 v37, v42, v43 op_sel:[0,0,1]              // 0000000054B0: D2A24025 0002572A
	v_cvt_pk_fp8_f32 v38, v44, v45                             // 0000000054B8: D2A20026 00025B2C
	v_cvt_pk_fp8_f32 v38, v46, v47 op_sel:[0,0,1]              // 0000000054C0: D2A24026 00025F2E
	v_cvt_pk_fp8_f32 v39, v48, v49                             // 0000000054C8: D2A20027 00026330
	v_cvt_pk_fp8_f32 v39, v50, v51 op_sel:[0,0,1]              // 0000000054D0: D2A24027 00026732
	s_nop 0                                                    // 0000000054D8: BF800000
	v_permlane16_swap_b32_e32 v36, v37                         // 0000000054DC: 7E48B325
	v_permlane16_swap_b32_e32 v38, v39                         // 0000000054E0: 7E4CB327
	s_nop 0                                                    // 0000000054E4: BF800000
	v_permlane32_swap_b32_e32 v36, v38                         // 0000000054E8: 7E48B526
	v_permlane32_swap_b32_e32 v37, v39                         // 0000000054EC: 7E4AB527
	ds_write_b128 v32, v[36:39]                                // 0000000054F0: D9BE0000 00002420
	s_waitcnt lgkmcnt(0)                                       // 0000000054F8: BF8CC07F
	s_barrier                                                  // 0000000054FC: BF8A0000
	ds_read_b128 v[36:39], v33                                 // 000000005500: D9FE0000 24000021
	ds_read_b128 v[40:43], v33 offset:1024                     // 000000005508: D9FE0400 28000021
	s_waitcnt lgkmcnt(0)                                       // 000000005510: BF8CC07F
	v_permlane16_swap_b32_e32 v36, v40                         // 000000005514: 7E48B328
	v_permlane16_swap_b32_e32 v37, v41                         // 000000005518: 7E4AB329
	v_permlane16_swap_b32_e32 v38, v42                         // 00000000551C: 7E4CB32A
	v_permlane16_swap_b32_e32 v39, v43                         // 000000005520: 7E4EB32B
	v_permlane32_swap_b32_e32 v36, v40                         // 000000005524: 7E48B528
	v_permlane32_swap_b32_e32 v37, v41                         // 000000005528: 7E4AB529
	v_permlane32_swap_b32_e32 v38, v42                         // 00000000552C: 7E4CB52A
	v_permlane32_swap_b32_e32 v39, v43                         // 000000005530: 7E4EB52B
	ds_write_b32 v34, v18                                      // 000000005534: D81A0000 00001222
	s_waitcnt lgkmcnt(0)                                       // 00000000553C: BF8CC07F
	s_barrier                                                  // 000000005540: BF8A0000
	ds_read_b32 v27, v35                                       // 000000005544: D86C0000 1B000023
	s_waitcnt lgkmcnt(0)                                       // 00000000554C: BF8CC07F
	v_mul_f32_e32 v52, v27, v52                                // 000000005550: 0A68691B
	v_mul_f32_e32 v53, v27, v53                                // 000000005554: 0A6A6B1B
	v_mul_f32_e32 v54, v27, v54                                // 000000005558: 0A6C6D1B
	v_mul_f32_e32 v55, v27, v55                                // 00000000555C: 0A6E6F1B
	v_mul_f32_e32 v56, v27, v56                                // 000000005560: 0A70711B
	v_mul_f32_e32 v57, v27, v57                                // 000000005564: 0A72731B
	v_mul_f32_e32 v58, v27, v58                                // 000000005568: 0A74751B
	v_mul_f32_e32 v59, v27, v59                                // 00000000556C: 0A76771B
	v_mul_f32_e32 v60, v27, v60                                // 000000005570: 0A78791B
	v_mul_f32_e32 v61, v27, v61                                // 000000005574: 0A7A7B1B
	v_mul_f32_e32 v62, v27, v62                                // 000000005578: 0A7C7D1B
	v_mul_f32_e32 v63, v27, v63                                // 00000000557C: 0A7E7F1B
	v_mul_f32_e32 v64, v27, v64                                // 000000005580: 0A80811B
	v_mul_f32_e32 v65, v27, v65                                // 000000005584: 0A82831B
	v_mul_f32_e32 v66, v27, v66                                // 000000005588: 0A84851B
	v_mul_f32_e32 v67, v27, v67                                // 00000000558C: 0A86871B
	v_mul_f32_e32 v68, v27, v68                                // 000000005590: 0A88891B
	v_mul_f32_e32 v69, v27, v69                                // 000000005594: 0A8A8B1B
	v_mul_f32_e32 v70, v27, v70                                // 000000005598: 0A8C8D1B
	v_mul_f32_e32 v71, v27, v71                                // 00000000559C: 0A8E8F1B
	v_mul_f32_e32 v72, v27, v72                                // 0000000055A0: 0A90911B
	v_mul_f32_e32 v73, v27, v73                                // 0000000055A4: 0A92931B
	v_mul_f32_e32 v74, v27, v74                                // 0000000055A8: 0A94951B
	v_mul_f32_e32 v75, v27, v75                                // 0000000055AC: 0A96971B
	v_mul_f32_e32 v76, v27, v76                                // 0000000055B0: 0A98991B
	v_mul_f32_e32 v77, v27, v77                                // 0000000055B4: 0A9A9B1B
	v_mul_f32_e32 v78, v27, v78                                // 0000000055B8: 0A9C9D1B
	v_mul_f32_e32 v79, v27, v79                                // 0000000055BC: 0A9E9F1B
	v_mul_f32_e32 v80, v27, v80                                // 0000000055C0: 0AA0A11B
	v_mul_f32_e32 v81, v27, v81                                // 0000000055C4: 0AA2A31B
	v_mul_f32_e32 v82, v27, v82                                // 0000000055C8: 0AA4A51B
	v_mul_f32_e32 v83, v27, v83                                // 0000000055CC: 0AA6A71B
	v_mul_f32_e32 v84, v27, v84                                // 0000000055D0: 0AA8A91B
	v_mul_f32_e32 v85, v27, v85                                // 0000000055D4: 0AAAAB1B
	v_mul_f32_e32 v86, v27, v86                                // 0000000055D8: 0AACAD1B
	v_mul_f32_e32 v87, v27, v87                                // 0000000055DC: 0AAEAF1B
	v_mul_f32_e32 v88, v27, v88                                // 0000000055E0: 0AB0B11B
	v_mul_f32_e32 v89, v27, v89                                // 0000000055E4: 0AB2B31B
	v_mul_f32_e32 v90, v27, v90                                // 0000000055E8: 0AB4B51B
	v_mul_f32_e32 v91, v27, v91                                // 0000000055EC: 0AB6B71B
	v_mul_f32_e32 v92, v27, v92                                // 0000000055F0: 0AB8B91B
	v_mul_f32_e32 v93, v27, v93                                // 0000000055F4: 0ABABB1B
	v_mul_f32_e32 v94, v27, v94                                // 0000000055F8: 0ABCBD1B
	v_mul_f32_e32 v95, v27, v95                                // 0000000055FC: 0ABEBF1B
	v_mul_f32_e32 v96, v27, v96                                // 000000005600: 0AC0C11B
	v_mul_f32_e32 v97, v27, v97                                // 000000005604: 0AC2C31B
	v_mul_f32_e32 v98, v27, v98                                // 000000005608: 0AC4C51B
	v_mul_f32_e32 v99, v27, v99                                // 00000000560C: 0AC6C71B
	v_mul_f32_e32 v100, v27, v100                              // 000000005610: 0AC8C91B
	v_mul_f32_e32 v101, v27, v101                              // 000000005614: 0ACACB1B
	v_mul_f32_e32 v102, v27, v102                              // 000000005618: 0ACCCD1B
	v_mul_f32_e32 v103, v27, v103                              // 00000000561C: 0ACECF1B
	v_mul_f32_e32 v104, v27, v104                              // 000000005620: 0AD0D11B
	v_mul_f32_e32 v105, v27, v105                              // 000000005624: 0AD2D31B
	v_mul_f32_e32 v106, v27, v106                              // 000000005628: 0AD4D51B
	v_mul_f32_e32 v107, v27, v107                              // 00000000562C: 0AD6D71B
	v_mul_f32_e32 v108, v27, v108                              // 000000005630: 0AD8D91B
	v_mul_f32_e32 v109, v27, v109                              // 000000005634: 0ADADB1B
	v_mul_f32_e32 v110, v27, v110                              // 000000005638: 0ADCDD1B
	v_mul_f32_e32 v111, v27, v111                              // 00000000563C: 0ADEDF1B
	v_mul_f32_e32 v112, v27, v112                              // 000000005640: 0AE0E11B
	v_mul_f32_e32 v113, v27, v113                              // 000000005644: 0AE2E31B
	v_mul_f32_e32 v114, v27, v114                              // 000000005648: 0AE4E51B
	v_mul_f32_e32 v115, v27, v115                              // 00000000564C: 0AE6E71B
	v_mul_f32_e32 v116, v27, v116                              // 000000005650: 0AE8E91B
	v_mul_f32_e32 v117, v27, v117                              // 000000005654: 0AEAEB1B
	v_mul_f32_e32 v118, v27, v118                              // 000000005658: 0AECED1B
	v_mul_f32_e32 v119, v27, v119                              // 00000000565C: 0AEEEF1B
	v_mul_f32_e32 v120, v27, v120                              // 000000005660: 0AF0F11B
	v_mul_f32_e32 v121, v27, v121                              // 000000005664: 0AF2F31B
	v_mul_f32_e32 v122, v27, v122                              // 000000005668: 0AF4F51B
	v_mul_f32_e32 v123, v27, v123                              // 00000000566C: 0AF6F71B
	v_mul_f32_e32 v124, v27, v124                              // 000000005670: 0AF8F91B
	v_mul_f32_e32 v125, v27, v125                              // 000000005674: 0AFAFB1B
	v_mul_f32_e32 v126, v27, v126                              // 000000005678: 0AFCFD1B
	v_mul_f32_e32 v127, v27, v127                              // 00000000567C: 0AFEFF1B
	v_mul_f32_e32 v128, v27, v128                              // 000000005680: 0B01011B
	v_mul_f32_e32 v129, v27, v129                              // 000000005684: 0B03031B
	v_mul_f32_e32 v130, v27, v130                              // 000000005688: 0B05051B
	v_mul_f32_e32 v131, v27, v131                              // 00000000568C: 0B07071B
	v_mul_f32_e32 v132, v27, v132                              // 000000005690: 0B09091B
	v_mul_f32_e32 v133, v27, v133                              // 000000005694: 0B0B0B1B
	v_mul_f32_e32 v134, v27, v134                              // 000000005698: 0B0D0D1B
	v_mul_f32_e32 v135, v27, v135                              // 00000000569C: 0B0F0F1B
	v_mul_f32_e32 v136, v27, v136                              // 0000000056A0: 0B11111B
	v_mul_f32_e32 v137, v27, v137                              // 0000000056A4: 0B13131B
	v_mul_f32_e32 v138, v27, v138                              // 0000000056A8: 0B15151B
	v_mul_f32_e32 v139, v27, v139                              // 0000000056AC: 0B17171B
	v_mul_f32_e32 v140, v27, v140                              // 0000000056B0: 0B19191B
	v_mul_f32_e32 v141, v27, v141                              // 0000000056B4: 0B1B1B1B
	v_mul_f32_e32 v142, v27, v142                              // 0000000056B8: 0B1D1D1B
	v_mul_f32_e32 v143, v27, v143                              // 0000000056BC: 0B1F1F1B
	v_mul_f32_e32 v144, v27, v144                              // 0000000056C0: 0B21211B
	v_mul_f32_e32 v145, v27, v145                              // 0000000056C4: 0B23231B
	v_mul_f32_e32 v146, v27, v146                              // 0000000056C8: 0B25251B
	v_mul_f32_e32 v147, v27, v147                              // 0000000056CC: 0B27271B
	v_mul_f32_e32 v148, v27, v148                              // 0000000056D0: 0B29291B
	v_mul_f32_e32 v149, v27, v149                              // 0000000056D4: 0B2B2B1B
	v_mul_f32_e32 v150, v27, v150                              // 0000000056D8: 0B2D2D1B
	v_mul_f32_e32 v151, v27, v151                              // 0000000056DC: 0B2F2F1B
	v_mul_f32_e32 v152, v27, v152                              // 0000000056E0: 0B31311B
	v_mul_f32_e32 v153, v27, v153                              // 0000000056E4: 0B33331B
	v_mul_f32_e32 v154, v27, v154                              // 0000000056E8: 0B35351B
	v_mul_f32_e32 v155, v27, v155                              // 0000000056EC: 0B37371B
	v_mul_f32_e32 v156, v27, v156                              // 0000000056F0: 0B39391B
	v_mul_f32_e32 v157, v27, v157                              // 0000000056F4: 0B3B3B1B
	v_mul_f32_e32 v158, v27, v158                              // 0000000056F8: 0B3D3D1B
	v_mul_f32_e32 v159, v27, v159                              // 0000000056FC: 0B3F3F1B
	v_mul_f32_e32 v160, v27, v160                              // 000000005700: 0B41411B
	v_mul_f32_e32 v161, v27, v161                              // 000000005704: 0B43431B
	v_mul_f32_e32 v162, v27, v162                              // 000000005708: 0B45451B
	v_mul_f32_e32 v163, v27, v163                              // 00000000570C: 0B47471B
	v_mul_f32_e32 v164, v27, v164                              // 000000005710: 0B49491B
	v_mul_f32_e32 v165, v27, v165                              // 000000005714: 0B4B4B1B
	v_mul_f32_e32 v166, v27, v166                              // 000000005718: 0B4D4D1B
	v_mul_f32_e32 v167, v27, v167                              // 00000000571C: 0B4F4F1B
	v_mul_f32_e32 v168, v27, v168                              // 000000005720: 0B51511B
	v_mul_f32_e32 v169, v27, v169                              // 000000005724: 0B53531B
	v_mul_f32_e32 v170, v27, v170                              // 000000005728: 0B55551B
	v_mul_f32_e32 v171, v27, v171                              // 00000000572C: 0B57571B
	v_mul_f32_e32 v172, v27, v172                              // 000000005730: 0B59591B
	v_mul_f32_e32 v173, v27, v173                              // 000000005734: 0B5B5B1B
	v_mul_f32_e32 v174, v27, v174                              // 000000005738: 0B5D5D1B
	v_mul_f32_e32 v175, v27, v175                              // 00000000573C: 0B5F5F1B
	v_mul_f32_e32 v176, v27, v176                              // 000000005740: 0B61611B
	v_mul_f32_e32 v177, v27, v177                              // 000000005744: 0B63631B
	v_mul_f32_e32 v178, v27, v178                              // 000000005748: 0B65651B
	v_mul_f32_e32 v179, v27, v179                              // 00000000574C: 0B67671B
	s_waitcnt lgkmcnt(0)                                       // 000000005750: BF8CC07F
	v_mfma_f32_32x32x64_f8f6f4 v[52:67], a[120:127], v[36:43], v[52:67]// 000000005754: D3AE0034 0CD24978
	v_mfma_f32_32x32x64_f8f6f4 v[68:83], a[128:135], v[36:43], v[68:83]// 00000000575C: D3AE0044 0D124980
	v_mfma_f32_32x32x64_f8f6f4 v[84:99], a[136:143], v[36:43], v[84:99]// 000000005764: D3AE0054 0D524988
	v_mfma_f32_32x32x64_f8f6f4 v[100:115], a[144:151], v[36:43], v[100:115]// 00000000576C: D3AE0064 0D924990
	v_mfma_f32_32x32x64_f8f6f4 v[116:131], a[152:159], v[36:43], v[116:131]// 000000005774: D3AE0074 0DD24998
	v_mfma_f32_32x32x64_f8f6f4 v[132:147], a[160:167], v[36:43], v[132:147]// 00000000577C: D3AE0084 0E1249A0
	v_mfma_f32_32x32x64_f8f6f4 v[148:163], a[168:175], v[36:43], v[148:163]// 000000005784: D3AE0094 0E5249A8
	v_mfma_f32_32x32x64_f8f6f4 v[164:179], a[176:183], v[36:43], v[164:179]// 00000000578C: D3AE00A4 0E9249B0
	s_waitcnt lgkmcnt(0)                                       // 000000005794: BF8CC07F
	s_waitcnt vmcnt(10)                                        // 000000005798: BF8C0F7A
	s_barrier                                                  // 00000000579C: BF8A0000
	ds_read_b128 a[40:43], v22                                 // 0000000057A0: DBFE0000 28000016
	ds_read_b128 a[44:47], v22 offset:1024                     // 0000000057A8: DBFE0400 2C000016
	ds_read_b128 a[48:51], v22 offset:2048                     // 0000000057B0: DBFE0800 30000016
	ds_read_b128 a[52:55], v22 offset:3072                     // 0000000057B8: DBFE0C00 34000016
	ds_read_b128 a[56:59], v22 offset:4096                     // 0000000057C0: DBFE1000 38000016
	ds_read_b128 a[60:63], v22 offset:5120                     // 0000000057C8: DBFE1400 3C000016
	ds_read_b128 a[64:67], v22 offset:6144                     // 0000000057D0: DBFE1800 40000016
	ds_read_b128 a[68:71], v22 offset:7168                     // 0000000057D8: DBFE1C00 44000016
	ds_read_b128 a[72:75], v22 offset:8192                     // 0000000057E0: DBFE2000 48000016
	ds_read_b128 a[80:83], v22 offset:9216                     // 0000000057E8: DBFE2400 50000016
	ds_read_b128 a[84:87], v22 offset:10240                    // 0000000057F0: DBFE2800 54000016
	ds_read_b128 a[88:91], v22 offset:11264                    // 0000000057F8: DBFE2C00 58000016
	ds_read_b128 a[92:95], v22 offset:12288                    // 000000005800: DBFE3000 5C000016
	ds_read_b128 a[96:99], v22 offset:13312                    // 000000005808: DBFE3400 60000016
	ds_read_b128 a[100:103], v22 offset:14336                  // 000000005810: DBFE3800 64000016
	ds_read_b128 a[104:107], v22 offset:15360                  // 000000005818: DBFE3C00 68000016
	ds_read_b128 a[108:111], v22 offset:16384                  // 000000005820: DBFE4000 6C000016
	ds_read_b128 a[112:115], v22 offset:17408                  // 000000005828: DBFE4400 70000016
	s_addk_i32 s70, 0x1                                        // 000000005830: B7460001
	s_cmp_lt_i32 s70, s71                                      // 000000005834: BF044746
	s_cbranch_scc0 label_2A2C                                  // 000000005838: BF84FD7C
	s_waitcnt lgkmcnt(4)                                       // 00000000583C: BF8CC47F
	v_mfma_f32_16x16x128_f8f6f4 v[36:39], a[40:47], a[0:7], 0  // 000000005840: D3AD0024 1A020128
	v_mul_u32_u24_e64 v30, v23, s68                            // 000000005848: D108001E 00008917
	v_add_u32_e32 v30, v30, v1                                 // 000000005850: 683C031E
	buffer_load_dword v25, v26, s[24:27], 0 offen              // 000000005854: E0501000 8006191A
	ds_read_b128 a[40:43], v22 offset:18432                    // 00000000585C: DBFE4800 28000016
	v_mfma_f32_16x16x128_f8f6f4 v[36:39], a[48:55], a[8:15], v[36:39]// 000000005864: D3AD0024 1C921130
	s_mov_b32 s56, 0x14000                                     // 00000000586C: BEB800FF 00014000
	s_mul_i32 s57, s7, 0x2400                                  // 000000005874: 9239FF07 00002400
	s_add_u32 m0, s56, s57                                     // 00000000587C: 807C3938
	buffer_load_dwordx4 v30, s[20:23], 0 offen lds             // 000000005880: E05D1000 8005001E
	s_add_i32 m0, m0, 0x3c0                                    // 000000005888: 817CFF7C 000003C0
	v_mfma_f32_16x16x128_f8f6f4 v[36:39], a[56:63], a[16:23], v[36:39]// 000000005890: D3AD0024 1C922138
	ds_read_b128 a[44:47], v22 offset:19456                    // 000000005898: DBFE4C00 2C000016
	v_mfma_f32_16x16x128_f8f6f4 v[36:39], a[64:71], a[24:31], v[36:39]// 0000000058A0: D3AD0024 1C923140
	buffer_load_dwordx4 v30, s[20:23], 0 offen offset:64 lds   // 0000000058A8: E05D1040 8005001E
	s_add_i32 m0, m0, 0x3c0                                    // 0000000058B0: 817CFF7C 000003C0
	v_mfma_f32_16x16x128_f8f6f4 v[36:39], a[72:79], a[32:39], v[36:39]// 0000000058B8: D3AD0024 1C924148
	ds_read_b128 a[48:51], v22 offset:20480                    // 0000000058C0: DBFE5000 30000016
	v_mfma_f32_16x16x128_f8f6f4 v[40:43], a[80:87], a[0:7], 0  // 0000000058C8: D3AD0028 1A020150
	buffer_load_dwordx4 v30, s[20:23], 0 offen offset:128 lds  // 0000000058D0: E05D1080 8005001E
	s_add_i32 m0, m0, 0x3c0                                    // 0000000058D8: 817CFF7C 000003C0
	v_mfma_f32_16x16x128_f8f6f4 v[40:43], a[88:95], a[8:15], v[40:43]// 0000000058E0: D3AD0028 1CA21158
	ds_read_b128 a[52:55], v22 offset:21504                    // 0000000058E8: DBFE5400 34000016
	v_mfma_f32_16x16x128_f8f6f4 v[40:43], a[96:103], a[16:23], v[40:43]// 0000000058F0: D3AD0028 1CA22160
	buffer_load_dwordx4 v30, s[20:23], 0 offen offset:192 lds  // 0000000058F8: E05D10C0 8005001E
	s_add_i32 m0, m0, 0x3c0                                    // 000000005900: 817CFF7C 000003C0
	v_mfma_f32_16x16x128_f8f6f4 v[40:43], a[104:111], a[24:31], v[40:43]// 000000005908: D3AD0028 1CA23168
	ds_read_b128 a[56:59], v22 offset:22528                    // 000000005910: DBFE5800 38000016
	v_mfma_f32_16x16x128_f8f6f4 v[40:43], a[112:119], a[32:39], v[40:43]// 000000005918: D3AD0028 1CA24170
	buffer_load_dwordx4 v30, s[20:23], 0 offen offset:256 lds  // 000000005920: E05D1100 8005001E
	s_add_i32 m0, m0, 0x3c0                                    // 000000005928: 817CFF7C 000003C0
	buffer_load_dwordx4 v30, s[20:23], 0 offen offset:320 lds  // 000000005930: E05D1140 8005001E
	s_add_i32 m0, m0, 0x3c0                                    // 000000005938: 817CFF7C 000003C0
	buffer_load_dwordx4 v30, s[20:23], 0 offen offset:384 lds  // 000000005940: E05D1180 8005001E
	s_add_i32 m0, m0, 0x3c0                                    // 000000005948: 817CFF7C 000003C0
	buffer_load_dwordx4 v30, s[20:23], 0 offen offset:448 lds  // 000000005950: E05D11C0 8005001E
	s_add_i32 m0, m0, 0x3c0                                    // 000000005958: 817CFF7C 000003C0
	buffer_load_dwordx4 v30, s[20:23], 0 offen offset:512 lds  // 000000005960: E05D1200 8005001E
	s_add_i32 m0, m0, 0x3c0                                    // 000000005968: 817CFF7C 000003C0
	ds_read_b128 a[60:63], v22 offset:23552                    // 000000005970: DBFE5C00 3C000016
	ds_read_b128 a[64:67], v22 offset:24576                    // 000000005978: DBFE6000 40000016
	ds_read_b128 a[68:71], v22 offset:25600                    // 000000005980: DBFE6400 44000016
	ds_read_b128 a[72:75], v22 offset:26624                    // 000000005988: DBFE6800 48000016
	ds_read_b128 a[80:83], v22 offset:27648                    // 000000005990: DBFE6C00 50000016
	ds_read_b128 a[84:87], v22 offset:28672                    // 000000005998: DBFE7000 54000016
	ds_read_b128 a[88:91], v22 offset:29696                    // 0000000059A0: DBFE7400 58000016
	ds_read_b128 a[92:95], v22 offset:30720                    // 0000000059A8: DBFE7800 5C000016
	ds_read_b128 a[96:99], v22 offset:31744                    // 0000000059B0: DBFE7C00 60000016
	ds_read_b128 a[100:103], v22 offset:32768                  // 0000000059B8: DBFE8000 64000016
	ds_read_b128 a[104:107], v22 offset:33792                  // 0000000059C0: DBFE8400 68000016
	ds_read_b128 a[108:111], v22 offset:34816                  // 0000000059C8: DBFE8800 6C000016
	ds_read_b128 a[112:115], v22 offset:35840                  // 0000000059D0: DBFE8C00 70000016
	v_add_u32_e32 v26, s73, v26                                // 0000000059D8: 68343449
	s_waitcnt lgkmcnt(4)                                       // 0000000059DC: BF8CC47F
	v_mfma_f32_16x16x128_f8f6f4 v[44:47], a[40:47], a[0:7], 0  // 0000000059E0: D3AD002C 1A020128
	ds_read_b64_tr_b8 a[120:121], v14                          // 0000000059E8: DBC40000 7800000E
	ds_read_b64_tr_b8 a[122:123], v15                          // 0000000059F0: DBC40000 7A00000F
	ds_read_b64_tr_b8 a[124:125], v14 offset:18432             // 0000000059F8: DBC44800 7C00000E
	ds_read_b64_tr_b8 a[126:127], v15 offset:18432             // 000000005A00: DBC44800 7E00000F
	v_mfma_f32_16x16x128_f8f6f4 v[44:47], a[48:55], a[8:15], v[44:47]// 000000005A08: D3AD002C 1CB21130
	v_mfma_f32_16x16x128_f8f6f4 v[44:47], a[56:63], a[16:23], v[44:47]// 000000005A10: D3AD002C 1CB22138
	ds_read_b64_tr_b8 a[128:129], v16                          // 000000005A18: DBC40000 80000010
	ds_read_b64_tr_b8 a[130:131], v17                          // 000000005A20: DBC40000 82000011
	ds_read_b64_tr_b8 a[132:133], v16 offset:18432             // 000000005A28: DBC44800 84000010
	ds_read_b64_tr_b8 a[134:135], v17 offset:18432             // 000000005A30: DBC44800 86000011
	v_mfma_f32_16x16x128_f8f6f4 v[44:47], a[64:71], a[24:31], v[44:47]// 000000005A38: D3AD002C 1CB23140
	v_mfma_f32_16x16x128_f8f6f4 v[44:47], a[72:79], a[32:39], v[44:47]// 000000005A40: D3AD002C 1CB24148
	ds_read_b64_tr_b8 a[136:137], v14 offset:1024              // 000000005A48: DBC40400 8800000E
	ds_read_b64_tr_b8 a[138:139], v15 offset:1024              // 000000005A50: DBC40400 8A00000F
	ds_read_b64_tr_b8 a[140:141], v14 offset:19456             // 000000005A58: DBC44C00 8C00000E
	ds_read_b64_tr_b8 a[142:143], v15 offset:19456             // 000000005A60: DBC44C00 8E00000F
	v_mfma_f32_16x16x128_f8f6f4 v[48:51], a[80:87], a[0:7], 0  // 000000005A68: D3AD0030 1A020150
	v_mfma_f32_16x16x128_f8f6f4 v[48:51], a[88:95], a[8:15], v[48:51]// 000000005A70: D3AD0030 1CC21158
	ds_read_b64_tr_b8 a[144:145], v16 offset:1024              // 000000005A78: DBC40400 90000010
	ds_read_b64_tr_b8 a[146:147], v17 offset:1024              // 000000005A80: DBC40400 92000011
	ds_read_b64_tr_b8 a[148:149], v16 offset:19456             // 000000005A88: DBC44C00 94000010
	ds_read_b64_tr_b8 a[150:151], v17 offset:19456             // 000000005A90: DBC44C00 96000011
	v_mfma_f32_16x16x128_f8f6f4 v[48:51], a[96:103], a[16:23], v[48:51]// 000000005A98: D3AD0030 1CC22160
	v_mfma_f32_16x16x128_f8f6f4 v[48:51], a[104:111], a[24:31], v[48:51]// 000000005AA0: D3AD0030 1CC23168
	ds_read_b64_tr_b8 a[152:153], v14 offset:2048              // 000000005AA8: DBC40800 9800000E
	ds_read_b64_tr_b8 a[154:155], v15 offset:2048              // 000000005AB0: DBC40800 9A00000F
	ds_read_b64_tr_b8 a[156:157], v14 offset:20480             // 000000005AB8: DBC45000 9C00000E
	ds_read_b64_tr_b8 a[158:159], v15 offset:20480             // 000000005AC0: DBC45000 9E00000F
	v_mfma_f32_16x16x128_f8f6f4 v[48:51], a[112:119], a[32:39], v[48:51]// 000000005AC8: D3AD0030 1CC24170
	ds_read_b64_tr_b8 a[160:161], v16 offset:2048              // 000000005AD0: DBC40800 A0000010
	ds_read_b64_tr_b8 a[162:163], v17 offset:2048              // 000000005AD8: DBC40800 A2000011
	ds_read_b64_tr_b8 a[164:165], v16 offset:20480             // 000000005AE0: DBC45000 A4000010
	ds_read_b64_tr_b8 a[166:167], v17 offset:20480             // 000000005AE8: DBC45000 A6000011
	ds_read_b64_tr_b8 a[168:169], v14 offset:3072              // 000000005AF0: DBC40C00 A800000E
	ds_read_b64_tr_b8 a[170:171], v15 offset:3072              // 000000005AF8: DBC40C00 AA00000F
	ds_read_b64_tr_b8 a[172:173], v14 offset:21504             // 000000005B00: DBC45400 AC00000E
	ds_read_b64_tr_b8 a[174:175], v15 offset:21504             // 000000005B08: DBC45400 AE00000F
	ds_read_b64_tr_b8 a[176:177], v16 offset:3072              // 000000005B10: DBC40C00 B0000010
	ds_read_b64_tr_b8 a[178:179], v17 offset:3072              // 000000005B18: DBC40C00 B2000011
	ds_read_b64_tr_b8 a[180:181], v16 offset:21504             // 000000005B20: DBC45400 B4000010
	ds_read_b64_tr_b8 a[182:183], v17 offset:21504             // 000000005B28: DBC45400 B6000011
	s_cmp_le_i32 s83, s82                                      // 000000005B30: BF055253
	s_cbranch_scc1 label_38E4                                  // 000000005B34: BF85006B
	v_mov_b32_e32 v27, s82                                     // 000000005B38: 7E360252
	v_add_u32_e32 v27, s7, v27                                 // 000000005B3C: 68363607
	s_sub_u32 s56, s83, 63                                     // 000000005B40: 80B8BF53
	v_lshrrev_b32_e32 v20, 4, v0                               // 000000005B44: 20280084
	v_mul_i32_i24_e32 v20, 4, v20                              // 000000005B48: 0C282884
	v_add_u32_e32 v20, s56, v20                                // 000000005B4C: 68282838
	v_add_u32_e32 v21, 1, v20                                  // 000000005B50: 682A2881
	v_add_u32_e32 v22, 2, v20                                  // 000000005B54: 682C2882
	v_add_u32_e32 v23, 3, v20                                  // 000000005B58: 682E2883
	v_mov_b32_e32 v28, 0xff800000                              // 000000005B5C: 7E3802FF FF800000
	v_cmp_le_u32_e64 s[36:37], v20, v27                        // 000000005B64: D0CB0024 00023714
	v_add_u32_e32 v20, 16, v20                                 // 000000005B6C: 68282890
	s_nop 0                                                    // 000000005B70: BF800000
	v_cndmask_b32_e64 v36, v28, v36, s[36:37]                  // 000000005B74: D1000024 0092491C
	v_cmp_le_u32_e64 s[36:37], v21, v27                        // 000000005B7C: D0CB0024 00023715
	v_add_u32_e32 v21, 16, v21                                 // 000000005B84: 682A2A90
	s_nop 0                                                    // 000000005B88: BF800000
	v_cndmask_b32_e64 v37, v28, v37, s[36:37]                  // 000000005B8C: D1000025 00924B1C
	v_cmp_le_u32_e64 s[36:37], v22, v27                        // 000000005B94: D0CB0024 00023716
	v_add_u32_e32 v22, 16, v22                                 // 000000005B9C: 682C2C90
	s_nop 0                                                    // 000000005BA0: BF800000
	v_cndmask_b32_e64 v38, v28, v38, s[36:37]                  // 000000005BA4: D1000026 00924D1C
	v_cmp_le_u32_e64 s[36:37], v23, v27                        // 000000005BAC: D0CB0024 00023717
	v_add_u32_e32 v23, 16, v23                                 // 000000005BB4: 682E2E90
	s_nop 0                                                    // 000000005BB8: BF800000
	v_cndmask_b32_e64 v39, v28, v39, s[36:37]                  // 000000005BBC: D1000027 00924F1C
	v_cmp_le_u32_e64 s[36:37], v20, v27                        // 000000005BC4: D0CB0024 00023714
	v_add_u32_e32 v20, 16, v20                                 // 000000005BCC: 68282890
	s_nop 0                                                    // 000000005BD0: BF800000
	v_cndmask_b32_e64 v40, v28, v40, s[36:37]                  // 000000005BD4: D1000028 0092511C
	v_cmp_le_u32_e64 s[36:37], v21, v27                        // 000000005BDC: D0CB0024 00023715
	v_add_u32_e32 v21, 16, v21                                 // 000000005BE4: 682A2A90
	s_nop 0                                                    // 000000005BE8: BF800000
	v_cndmask_b32_e64 v41, v28, v41, s[36:37]                  // 000000005BEC: D1000029 0092531C
	v_cmp_le_u32_e64 s[36:37], v22, v27                        // 000000005BF4: D0CB0024 00023716
	v_add_u32_e32 v22, 16, v22                                 // 000000005BFC: 682C2C90
	s_nop 0                                                    // 000000005C00: BF800000
	v_cndmask_b32_e64 v42, v28, v42, s[36:37]                  // 000000005C04: D100002A 0092551C
	v_cmp_le_u32_e64 s[36:37], v23, v27                        // 000000005C0C: D0CB0024 00023717
	v_add_u32_e32 v23, 16, v23                                 // 000000005C14: 682E2E90
	s_nop 0                                                    // 000000005C18: BF800000
	v_cndmask_b32_e64 v43, v28, v43, s[36:37]                  // 000000005C1C: D100002B 0092571C
	v_cmp_le_u32_e64 s[36:37], v20, v27                        // 000000005C24: D0CB0024 00023714
	v_add_u32_e32 v20, 16, v20                                 // 000000005C2C: 68282890
	s_nop 0                                                    // 000000005C30: BF800000
	v_cndmask_b32_e64 v44, v28, v44, s[36:37]                  // 000000005C34: D100002C 0092591C
	v_cmp_le_u32_e64 s[36:37], v21, v27                        // 000000005C3C: D0CB0024 00023715
	v_add_u32_e32 v21, 16, v21                                 // 000000005C44: 682A2A90
	s_nop 0                                                    // 000000005C48: BF800000
	v_cndmask_b32_e64 v45, v28, v45, s[36:37]                  // 000000005C4C: D100002D 00925B1C
	v_cmp_le_u32_e64 s[36:37], v22, v27                        // 000000005C54: D0CB0024 00023716
	v_add_u32_e32 v22, 16, v22                                 // 000000005C5C: 682C2C90
	s_nop 0                                                    // 000000005C60: BF800000
	v_cndmask_b32_e64 v46, v28, v46, s[36:37]                  // 000000005C64: D100002E 00925D1C
	v_cmp_le_u32_e64 s[36:37], v23, v27                        // 000000005C6C: D0CB0024 00023717
	v_add_u32_e32 v23, 16, v23                                 // 000000005C74: 682E2E90
	s_nop 0                                                    // 000000005C78: BF800000
	v_cndmask_b32_e64 v47, v28, v47, s[36:37]                  // 000000005C7C: D100002F 00925F1C
	v_cmp_le_u32_e64 s[36:37], v20, v27                        // 000000005C84: D0CB0024 00023714
	v_add_u32_e32 v20, 16, v20                                 // 000000005C8C: 68282890
	s_nop 0                                                    // 000000005C90: BF800000
	v_cndmask_b32_e64 v48, v28, v48, s[36:37]                  // 000000005C94: D1000030 0092611C
	v_cmp_le_u32_e64 s[36:37], v21, v27                        // 000000005C9C: D0CB0024 00023715
	v_add_u32_e32 v21, 16, v21                                 // 000000005CA4: 682A2A90
	s_nop 0                                                    // 000000005CA8: BF800000
	v_cndmask_b32_e64 v49, v28, v49, s[36:37]                  // 000000005CAC: D1000031 0092631C
	v_cmp_le_u32_e64 s[36:37], v22, v27                        // 000000005CB4: D0CB0024 00023716
	v_add_u32_e32 v22, 16, v22                                 // 000000005CBC: 682C2C90
	s_nop 0                                                    // 000000005CC0: BF800000
	v_cndmask_b32_e64 v50, v28, v50, s[36:37]                  // 000000005CC4: D1000032 0092651C
	v_cmp_le_u32_e64 s[36:37], v23, v27                        // 000000005CCC: D0CB0024 00023717
	v_add_u32_e32 v23, 16, v23                                 // 000000005CD4: 682E2E90
	s_nop 0                                                    // 000000005CD8: BF800000
	v_cndmask_b32_e64 v51, v28, v51, s[36:37]                  // 000000005CDC: D1000033 0092671C

0000000000005ce4 <label_38E4>:
	s_add_u32 s83, s84, s83                                    // 000000005CE4: 80535354
	s_nop 2                                                    // 000000005CE8: BF800002
	v_mov_b32_e32 v28, v36                                     // 000000005CEC: 7E380324
	v_max3_f32 v28, v36, v37, v28                              // 000000005CF0: D1D3001C 04724B24
	v_max3_f32 v28, v38, v39, v28                              // 000000005CF8: D1D3001C 04724F26
	v_max3_f32 v28, v40, v41, v28                              // 000000005D00: D1D3001C 04725328
	v_max3_f32 v28, v42, v43, v28                              // 000000005D08: D1D3001C 0472572A
	v_max3_f32 v28, v44, v45, v28                              // 000000005D10: D1D3001C 04725B2C
	v_max3_f32 v28, v46, v47, v28                              // 000000005D18: D1D3001C 04725F2E
	v_max3_f32 v28, v48, v49, v28                              // 000000005D20: D1D3001C 04726330
	v_max3_f32 v28, v50, v51, v28                              // 000000005D28: D1D3001C 04726732
	v_mov_b32_e32 v27, v28                                     // 000000005D30: 7E36031C
	v_mov_b32_e32 v28, v28                                     // 000000005D34: 7E38031C
	s_nop 1                                                    // 000000005D38: BF800001
	v_permlane16_swap_b32_e32 v27, v28                         // 000000005D3C: 7E36B31C
	v_mov_b32_e32 v30, v27                                     // 000000005D40: 7E3C031B
	v_mov_b32_e32 v29, v28                                     // 000000005D44: 7E3A031C
	s_nop 1                                                    // 000000005D48: BF800001
	v_permlane32_swap_b32_e32 v27, v28                         // 000000005D4C: 7E36B51C
	v_permlane32_swap_b32_e32 v29, v30                         // 000000005D50: 7E3AB51E
	v_max3_f32 v28, v27, v28, v28                              // 000000005D54: D1D3001C 0472391B
	v_max3_f32 v28, v29, v30, v28                              // 000000005D5C: D1D3001C 04723D1D
	v_mov_b32_e32 v27, 0xff800000                              // 000000005D64: 7E3602FF FF800000
	v_cmp_eq_u32_e64 s[36:37], v27, v2                         // 000000005D6C: D0CA0024 0002051B
	v_max_f32_e32 v28, v28, v2                                 // 000000005D74: 1638051C
	v_sub_f32_e32 v18, v2, v28                                 // 000000005D78: 04243902
	v_cndmask_b32_e64 v18, v18, 0, s[36:37]                    // 000000005D7C: D1000012 00910112
	v_mov_b32_e32 v2, v28                                      // 000000005D84: 7E04031C
	v_mul_f32_e32 v28, s5, v28                                 // 000000005D88: 0A383805
	v_mul_f32_e32 v18, s5, v18                                 // 000000005D8C: 0A242405
	v_exp_f32_e32 v18, v18                                     // 000000005D90: 7E244112
	v_fma_f32 v36, v36, s5, -v28                               // 000000005D94: D1CB0024 84700B24
	v_fma_f32 v37, v37, s5, -v28                               // 000000005D9C: D1CB0025 84700B25
	v_fma_f32 v38, v38, s5, -v28                               // 000000005DA4: D1CB0026 84700B26
	v_fma_f32 v39, v39, s5, -v28                               // 000000005DAC: D1CB0027 84700B27
	v_fma_f32 v40, v40, s5, -v28                               // 000000005DB4: D1CB0028 84700B28
	v_fma_f32 v41, v41, s5, -v28                               // 000000005DBC: D1CB0029 84700B29
	v_fma_f32 v42, v42, s5, -v28                               // 000000005DC4: D1CB002A 84700B2A
	v_fma_f32 v43, v43, s5, -v28                               // 000000005DCC: D1CB002B 84700B2B
	v_fma_f32 v44, v44, s5, -v28                               // 000000005DD4: D1CB002C 84700B2C
	v_fma_f32 v45, v45, s5, -v28                               // 000000005DDC: D1CB002D 84700B2D
	v_fma_f32 v46, v46, s5, -v28                               // 000000005DE4: D1CB002E 84700B2E
	v_fma_f32 v47, v47, s5, -v28                               // 000000005DEC: D1CB002F 84700B2F
	v_fma_f32 v48, v48, s5, -v28                               // 000000005DF4: D1CB0030 84700B30
	v_fma_f32 v49, v49, s5, -v28                               // 000000005DFC: D1CB0031 84700B31
	v_fma_f32 v50, v50, s5, -v28                               // 000000005E04: D1CB0032 84700B32
	v_fma_f32 v51, v51, s5, -v28                               // 000000005E0C: D1CB0033 84700B33
	v_exp_f32_e32 v36, v36                                     // 000000005E14: 7E484124
	v_exp_f32_e32 v37, v37                                     // 000000005E18: 7E4A4125
	v_exp_f32_e32 v38, v38                                     // 000000005E1C: 7E4C4126
	v_exp_f32_e32 v39, v39                                     // 000000005E20: 7E4E4127
	v_exp_f32_e32 v40, v40                                     // 000000005E24: 7E504128
	v_exp_f32_e32 v41, v41                                     // 000000005E28: 7E524129
	v_exp_f32_e32 v42, v42                                     // 000000005E2C: 7E54412A
	v_exp_f32_e32 v43, v43                                     // 000000005E30: 7E56412B
	v_exp_f32_e32 v44, v44                                     // 000000005E34: 7E58412C
	v_exp_f32_e32 v45, v45                                     // 000000005E38: 7E5A412D
	v_exp_f32_e32 v46, v46                                     // 000000005E3C: 7E5C412E
	v_exp_f32_e32 v47, v47                                     // 000000005E40: 7E5E412F
	v_exp_f32_e32 v48, v48                                     // 000000005E44: 7E604130
	v_exp_f32_e32 v49, v49                                     // 000000005E48: 7E624131
	v_exp_f32_e32 v50, v50                                     // 000000005E4C: 7E644132
	v_exp_f32_e32 v51, v51                                     // 000000005E50: 7E664133
	v_mul_f32_e32 v4, v18, v4                                  // 000000005E54: 0A080912
	v_mov_b32_e32 v27, v36                                     // 000000005E58: 7E360324
	v_add_f32_e32 v27, v37, v27                                // 000000005E5C: 02363725
	v_add_f32_e32 v27, v38, v27                                // 000000005E60: 02363726
	v_add_f32_e32 v27, v39, v27                                // 000000005E64: 02363727
	v_add_f32_e32 v27, v40, v27                                // 000000005E68: 02363728
	v_add_f32_e32 v27, v41, v27                                // 000000005E6C: 02363729
	v_add_f32_e32 v27, v42, v27                                // 000000005E70: 0236372A
	v_add_f32_e32 v27, v43, v27                                // 000000005E74: 0236372B
	v_add_f32_e32 v27, v44, v27                                // 000000005E78: 0236372C
	v_add_f32_e32 v27, v45, v27                                // 000000005E7C: 0236372D
	v_add_f32_e32 v27, v46, v27                                // 000000005E80: 0236372E
	v_add_f32_e32 v27, v47, v27                                // 000000005E84: 0236372F
	v_add_f32_e32 v27, v48, v27                                // 000000005E88: 02363730
	v_add_f32_e32 v27, v49, v27                                // 000000005E8C: 02363731
	v_add_f32_e32 v27, v50, v27                                // 000000005E90: 02363732
	v_add_f32_e32 v27, v51, v27                                // 000000005E94: 02363733
	v_add_f32_e32 v4, v27, v4                                  // 000000005E98: 0208091B
	v_cvt_pk_fp8_f32 v36, v36, v37                             // 000000005E9C: D2A20024 00024B24
	v_cvt_pk_fp8_f32 v36, v38, v39 op_sel:[0,0,1]              // 000000005EA4: D2A24024 00024F26
	v_cvt_pk_fp8_f32 v37, v40, v41                             // 000000005EAC: D2A20025 00025328
	v_cvt_pk_fp8_f32 v37, v42, v43 op_sel:[0,0,1]              // 000000005EB4: D2A24025 0002572A
	v_cvt_pk_fp8_f32 v38, v44, v45                             // 000000005EBC: D2A20026 00025B2C
	v_cvt_pk_fp8_f32 v38, v46, v47 op_sel:[0,0,1]              // 000000005EC4: D2A24026 00025F2E
	v_cvt_pk_fp8_f32 v39, v48, v49                             // 000000005ECC: D2A20027 00026330
	v_cvt_pk_fp8_f32 v39, v50, v51 op_sel:[0,0,1]              // 000000005ED4: D2A24027 00026732
	s_nop 0                                                    // 000000005EDC: BF800000
	v_permlane16_swap_b32_e32 v36, v37                         // 000000005EE0: 7E48B325
	v_permlane16_swap_b32_e32 v38, v39                         // 000000005EE4: 7E4CB327
	s_nop 0                                                    // 000000005EE8: BF800000
	v_permlane32_swap_b32_e32 v36, v38                         // 000000005EEC: 7E48B526
	v_permlane32_swap_b32_e32 v37, v39                         // 000000005EF0: 7E4AB527
	ds_write_b128 v32, v[36:39]                                // 000000005EF4: D9BE0000 00002420
	s_waitcnt lgkmcnt(0)                                       // 000000005EFC: BF8CC07F
	s_barrier                                                  // 000000005F00: BF8A0000
	ds_read_b128 v[36:39], v33                                 // 000000005F04: D9FE0000 24000021
	ds_read_b128 v[40:43], v33 offset:1024                     // 000000005F0C: D9FE0400 28000021
	s_waitcnt lgkmcnt(0)                                       // 000000005F14: BF8CC07F
	v_permlane16_swap_b32_e32 v36, v40                         // 000000005F18: 7E48B328
	v_permlane16_swap_b32_e32 v37, v41                         // 000000005F1C: 7E4AB329
	v_permlane16_swap_b32_e32 v38, v42                         // 000000005F20: 7E4CB32A
	v_permlane16_swap_b32_e32 v39, v43                         // 000000005F24: 7E4EB32B
	v_permlane32_swap_b32_e32 v36, v40                         // 000000005F28: 7E48B528
	v_permlane32_swap_b32_e32 v37, v41                         // 000000005F2C: 7E4AB529
	v_permlane32_swap_b32_e32 v38, v42                         // 000000005F30: 7E4CB52A
	v_permlane32_swap_b32_e32 v39, v43                         // 000000005F34: 7E4EB52B
	ds_write_b32 v34, v18                                      // 000000005F38: D81A0000 00001222
	s_waitcnt lgkmcnt(0)                                       // 000000005F40: BF8CC07F
	s_barrier                                                  // 000000005F44: BF8A0000
	ds_read_b32 v27, v35                                       // 000000005F48: D86C0000 1B000023
	s_waitcnt lgkmcnt(0)                                       // 000000005F50: BF8CC07F
	v_mul_f32_e32 v52, v27, v52                                // 000000005F54: 0A68691B
	v_mul_f32_e32 v53, v27, v53                                // 000000005F58: 0A6A6B1B
	v_mul_f32_e32 v54, v27, v54                                // 000000005F5C: 0A6C6D1B
	v_mul_f32_e32 v55, v27, v55                                // 000000005F60: 0A6E6F1B
	v_mul_f32_e32 v56, v27, v56                                // 000000005F64: 0A70711B
	v_mul_f32_e32 v57, v27, v57                                // 000000005F68: 0A72731B
	v_mul_f32_e32 v58, v27, v58                                // 000000005F6C: 0A74751B
	v_mul_f32_e32 v59, v27, v59                                // 000000005F70: 0A76771B
	v_mul_f32_e32 v60, v27, v60                                // 000000005F74: 0A78791B
	v_mul_f32_e32 v61, v27, v61                                // 000000005F78: 0A7A7B1B
	v_mul_f32_e32 v62, v27, v62                                // 000000005F7C: 0A7C7D1B
	v_mul_f32_e32 v63, v27, v63                                // 000000005F80: 0A7E7F1B
	v_mul_f32_e32 v64, v27, v64                                // 000000005F84: 0A80811B
	v_mul_f32_e32 v65, v27, v65                                // 000000005F88: 0A82831B
	v_mul_f32_e32 v66, v27, v66                                // 000000005F8C: 0A84851B
	v_mul_f32_e32 v67, v27, v67                                // 000000005F90: 0A86871B
	v_mul_f32_e32 v68, v27, v68                                // 000000005F94: 0A88891B
	v_mul_f32_e32 v69, v27, v69                                // 000000005F98: 0A8A8B1B
	v_mul_f32_e32 v70, v27, v70                                // 000000005F9C: 0A8C8D1B
	v_mul_f32_e32 v71, v27, v71                                // 000000005FA0: 0A8E8F1B
	v_mul_f32_e32 v72, v27, v72                                // 000000005FA4: 0A90911B
	v_mul_f32_e32 v73, v27, v73                                // 000000005FA8: 0A92931B
	v_mul_f32_e32 v74, v27, v74                                // 000000005FAC: 0A94951B
	v_mul_f32_e32 v75, v27, v75                                // 000000005FB0: 0A96971B
	v_mul_f32_e32 v76, v27, v76                                // 000000005FB4: 0A98991B
	v_mul_f32_e32 v77, v27, v77                                // 000000005FB8: 0A9A9B1B
	v_mul_f32_e32 v78, v27, v78                                // 000000005FBC: 0A9C9D1B
	v_mul_f32_e32 v79, v27, v79                                // 000000005FC0: 0A9E9F1B
	v_mul_f32_e32 v80, v27, v80                                // 000000005FC4: 0AA0A11B
	v_mul_f32_e32 v81, v27, v81                                // 000000005FC8: 0AA2A31B
	v_mul_f32_e32 v82, v27, v82                                // 000000005FCC: 0AA4A51B
	v_mul_f32_e32 v83, v27, v83                                // 000000005FD0: 0AA6A71B
	v_mul_f32_e32 v84, v27, v84                                // 000000005FD4: 0AA8A91B
	v_mul_f32_e32 v85, v27, v85                                // 000000005FD8: 0AAAAB1B
	v_mul_f32_e32 v86, v27, v86                                // 000000005FDC: 0AACAD1B
	v_mul_f32_e32 v87, v27, v87                                // 000000005FE0: 0AAEAF1B
	v_mul_f32_e32 v88, v27, v88                                // 000000005FE4: 0AB0B11B
	v_mul_f32_e32 v89, v27, v89                                // 000000005FE8: 0AB2B31B
	v_mul_f32_e32 v90, v27, v90                                // 000000005FEC: 0AB4B51B
	v_mul_f32_e32 v91, v27, v91                                // 000000005FF0: 0AB6B71B
	v_mul_f32_e32 v92, v27, v92                                // 000000005FF4: 0AB8B91B
	v_mul_f32_e32 v93, v27, v93                                // 000000005FF8: 0ABABB1B
	v_mul_f32_e32 v94, v27, v94                                // 000000005FFC: 0ABCBD1B
	v_mul_f32_e32 v95, v27, v95                                // 000000006000: 0ABEBF1B
	v_mul_f32_e32 v96, v27, v96                                // 000000006004: 0AC0C11B
	v_mul_f32_e32 v97, v27, v97                                // 000000006008: 0AC2C31B
	v_mul_f32_e32 v98, v27, v98                                // 00000000600C: 0AC4C51B
	v_mul_f32_e32 v99, v27, v99                                // 000000006010: 0AC6C71B
	v_mul_f32_e32 v100, v27, v100                              // 000000006014: 0AC8C91B
	v_mul_f32_e32 v101, v27, v101                              // 000000006018: 0ACACB1B
	v_mul_f32_e32 v102, v27, v102                              // 00000000601C: 0ACCCD1B
	v_mul_f32_e32 v103, v27, v103                              // 000000006020: 0ACECF1B
	v_mul_f32_e32 v104, v27, v104                              // 000000006024: 0AD0D11B
	v_mul_f32_e32 v105, v27, v105                              // 000000006028: 0AD2D31B
	v_mul_f32_e32 v106, v27, v106                              // 00000000602C: 0AD4D51B
	v_mul_f32_e32 v107, v27, v107                              // 000000006030: 0AD6D71B
	v_mul_f32_e32 v108, v27, v108                              // 000000006034: 0AD8D91B
	v_mul_f32_e32 v109, v27, v109                              // 000000006038: 0ADADB1B
	v_mul_f32_e32 v110, v27, v110                              // 00000000603C: 0ADCDD1B
	v_mul_f32_e32 v111, v27, v111                              // 000000006040: 0ADEDF1B
	v_mul_f32_e32 v112, v27, v112                              // 000000006044: 0AE0E11B
	v_mul_f32_e32 v113, v27, v113                              // 000000006048: 0AE2E31B
	v_mul_f32_e32 v114, v27, v114                              // 00000000604C: 0AE4E51B
	v_mul_f32_e32 v115, v27, v115                              // 000000006050: 0AE6E71B
	v_mul_f32_e32 v116, v27, v116                              // 000000006054: 0AE8E91B
	v_mul_f32_e32 v117, v27, v117                              // 000000006058: 0AEAEB1B
	v_mul_f32_e32 v118, v27, v118                              // 00000000605C: 0AECED1B
	v_mul_f32_e32 v119, v27, v119                              // 000000006060: 0AEEEF1B
	v_mul_f32_e32 v120, v27, v120                              // 000000006064: 0AF0F11B
	v_mul_f32_e32 v121, v27, v121                              // 000000006068: 0AF2F31B
	v_mul_f32_e32 v122, v27, v122                              // 00000000606C: 0AF4F51B
	v_mul_f32_e32 v123, v27, v123                              // 000000006070: 0AF6F71B
	v_mul_f32_e32 v124, v27, v124                              // 000000006074: 0AF8F91B
	v_mul_f32_e32 v125, v27, v125                              // 000000006078: 0AFAFB1B
	v_mul_f32_e32 v126, v27, v126                              // 00000000607C: 0AFCFD1B
	v_mul_f32_e32 v127, v27, v127                              // 000000006080: 0AFEFF1B
	v_mul_f32_e32 v128, v27, v128                              // 000000006084: 0B01011B
	v_mul_f32_e32 v129, v27, v129                              // 000000006088: 0B03031B
	v_mul_f32_e32 v130, v27, v130                              // 00000000608C: 0B05051B
	v_mul_f32_e32 v131, v27, v131                              // 000000006090: 0B07071B
	v_mul_f32_e32 v132, v27, v132                              // 000000006094: 0B09091B
	v_mul_f32_e32 v133, v27, v133                              // 000000006098: 0B0B0B1B
	v_mul_f32_e32 v134, v27, v134                              // 00000000609C: 0B0D0D1B
	v_mul_f32_e32 v135, v27, v135                              // 0000000060A0: 0B0F0F1B
	v_mul_f32_e32 v136, v27, v136                              // 0000000060A4: 0B11111B
	v_mul_f32_e32 v137, v27, v137                              // 0000000060A8: 0B13131B
	v_mul_f32_e32 v138, v27, v138                              // 0000000060AC: 0B15151B
	v_mul_f32_e32 v139, v27, v139                              // 0000000060B0: 0B17171B
	v_mul_f32_e32 v140, v27, v140                              // 0000000060B4: 0B19191B
	v_mul_f32_e32 v141, v27, v141                              // 0000000060B8: 0B1B1B1B
	v_mul_f32_e32 v142, v27, v142                              // 0000000060BC: 0B1D1D1B
	v_mul_f32_e32 v143, v27, v143                              // 0000000060C0: 0B1F1F1B
	v_mul_f32_e32 v144, v27, v144                              // 0000000060C4: 0B21211B
	v_mul_f32_e32 v145, v27, v145                              // 0000000060C8: 0B23231B
	v_mul_f32_e32 v146, v27, v146                              // 0000000060CC: 0B25251B
	v_mul_f32_e32 v147, v27, v147                              // 0000000060D0: 0B27271B
	v_mul_f32_e32 v148, v27, v148                              // 0000000060D4: 0B29291B
	v_mul_f32_e32 v149, v27, v149                              // 0000000060D8: 0B2B2B1B
	v_mul_f32_e32 v150, v27, v150                              // 0000000060DC: 0B2D2D1B
	v_mul_f32_e32 v151, v27, v151                              // 0000000060E0: 0B2F2F1B
	v_mul_f32_e32 v152, v27, v152                              // 0000000060E4: 0B31311B
	v_mul_f32_e32 v153, v27, v153                              // 0000000060E8: 0B33331B
	v_mul_f32_e32 v154, v27, v154                              // 0000000060EC: 0B35351B
	v_mul_f32_e32 v155, v27, v155                              // 0000000060F0: 0B37371B
	v_mul_f32_e32 v156, v27, v156                              // 0000000060F4: 0B39391B
	v_mul_f32_e32 v157, v27, v157                              // 0000000060F8: 0B3B3B1B
	v_mul_f32_e32 v158, v27, v158                              // 0000000060FC: 0B3D3D1B
	v_mul_f32_e32 v159, v27, v159                              // 000000006100: 0B3F3F1B
	v_mul_f32_e32 v160, v27, v160                              // 000000006104: 0B41411B
	v_mul_f32_e32 v161, v27, v161                              // 000000006108: 0B43431B
	v_mul_f32_e32 v162, v27, v162                              // 00000000610C: 0B45451B
	v_mul_f32_e32 v163, v27, v163                              // 000000006110: 0B47471B
	v_mul_f32_e32 v164, v27, v164                              // 000000006114: 0B49491B
	v_mul_f32_e32 v165, v27, v165                              // 000000006118: 0B4B4B1B
	v_mul_f32_e32 v166, v27, v166                              // 00000000611C: 0B4D4D1B
	v_mul_f32_e32 v167, v27, v167                              // 000000006120: 0B4F4F1B
	v_mul_f32_e32 v168, v27, v168                              // 000000006124: 0B51511B
	v_mul_f32_e32 v169, v27, v169                              // 000000006128: 0B53531B
	v_mul_f32_e32 v170, v27, v170                              // 00000000612C: 0B55551B
	v_mul_f32_e32 v171, v27, v171                              // 000000006130: 0B57571B
	v_mul_f32_e32 v172, v27, v172                              // 000000006134: 0B59591B
	v_mul_f32_e32 v173, v27, v173                              // 000000006138: 0B5B5B1B
	v_mul_f32_e32 v174, v27, v174                              // 00000000613C: 0B5D5D1B
	v_mul_f32_e32 v175, v27, v175                              // 000000006140: 0B5F5F1B
	v_mul_f32_e32 v176, v27, v176                              // 000000006144: 0B61611B
	v_mul_f32_e32 v177, v27, v177                              // 000000006148: 0B63631B
	v_mul_f32_e32 v178, v27, v178                              // 00000000614C: 0B65651B
	v_mul_f32_e32 v179, v27, v179                              // 000000006150: 0B67671B
	s_waitcnt lgkmcnt(0)                                       // 000000006154: BF8CC07F
	v_mfma_f32_32x32x64_f8f6f4 v[52:67], a[120:127], v[36:43], v[52:67]// 000000006158: D3AE0034 0CD24978
	v_mfma_f32_32x32x64_f8f6f4 v[68:83], a[128:135], v[36:43], v[68:83]// 000000006160: D3AE0044 0D124980
	v_mfma_f32_32x32x64_f8f6f4 v[84:99], a[136:143], v[36:43], v[84:99]// 000000006168: D3AE0054 0D524988
	v_mfma_f32_32x32x64_f8f6f4 v[100:115], a[144:151], v[36:43], v[100:115]// 000000006170: D3AE0064 0D924990
	v_mfma_f32_32x32x64_f8f6f4 v[116:131], a[152:159], v[36:43], v[116:131]// 000000006178: D3AE0074 0DD24998
	v_mfma_f32_32x32x64_f8f6f4 v[132:147], a[160:167], v[36:43], v[132:147]// 000000006180: D3AE0084 0E1249A0
	v_mfma_f32_32x32x64_f8f6f4 v[148:163], a[168:175], v[36:43], v[148:163]// 000000006188: D3AE0094 0E5249A8
	v_mfma_f32_32x32x64_f8f6f4 v[164:179], a[176:183], v[36:43], v[164:179]// 000000006190: D3AE00A4 0E9249B0
	s_waitcnt lgkmcnt(0)                                       // 000000006198: BF8CC07F
	s_waitcnt vmcnt(10)                                        // 00000000619C: BF8C0F7A
	s_barrier                                                  // 0000000061A0: BF8A0000
	ds_read_b128 a[40:43], v20                                 // 0000000061A4: DBFE0000 28000014
	ds_read_b128 a[44:47], v20 offset:1024                     // 0000000061AC: DBFE0400 2C000014
	ds_read_b128 a[48:51], v20 offset:2048                     // 0000000061B4: DBFE0800 30000014
	ds_read_b128 a[52:55], v20 offset:3072                     // 0000000061BC: DBFE0C00 34000014
	ds_read_b128 a[56:59], v20 offset:4096                     // 0000000061C4: DBFE1000 38000014
	ds_read_b128 a[60:63], v20 offset:5120                     // 0000000061CC: DBFE1400 3C000014
	ds_read_b128 a[64:67], v20 offset:6144                     // 0000000061D4: DBFE1800 40000014
	ds_read_b128 a[68:71], v20 offset:7168                     // 0000000061DC: DBFE1C00 44000014
	ds_read_b128 a[72:75], v20 offset:8192                     // 0000000061E4: DBFE2000 48000014
	ds_read_b128 a[80:83], v20 offset:9216                     // 0000000061EC: DBFE2400 50000014
	ds_read_b128 a[84:87], v20 offset:10240                    // 0000000061F4: DBFE2800 54000014
	ds_read_b128 a[88:91], v20 offset:11264                    // 0000000061FC: DBFE2C00 58000014
	ds_read_b128 a[92:95], v20 offset:12288                    // 000000006204: DBFE3000 5C000014
	ds_read_b128 a[96:99], v20 offset:13312                    // 00000000620C: DBFE3400 60000014
	ds_read_b128 a[100:103], v20 offset:14336                  // 000000006214: DBFE3800 64000014
	ds_read_b128 a[104:107], v20 offset:15360                  // 00000000621C: DBFE3C00 68000014
	ds_read_b128 a[108:111], v20 offset:16384                  // 000000006224: DBFE4000 6C000014
	ds_read_b128 a[112:115], v20 offset:17408                  // 00000000622C: DBFE4400 70000014
	s_addk_i32 s70, 0x1                                        // 000000006234: B7460001
	s_cmp_lt_i32 s70, s71                                      // 000000006238: BF044746
	s_cbranch_scc0 label_2A2C                                  // 00000000623C: BF84FAFB
	s_waitcnt lgkmcnt(4)                                       // 000000006240: BF8CC47F
	v_mfma_f32_16x16x128_f8f6f4 v[36:39], a[40:47], a[0:7], 0  // 000000006244: D3AD0024 1A020128
	v_mul_u32_u24_e64 v30, v24, s68                            // 00000000624C: D108001E 00008918
	v_add_u32_e32 v30, v30, v1                                 // 000000006254: 683C031E
	buffer_load_dword v23, v26, s[24:27], 0 offen              // 000000006258: E0501000 8006171A
	ds_read_b128 a[40:43], v20 offset:18432                    // 000000006260: DBFE4800 28000014
	v_mfma_f32_16x16x128_f8f6f4 v[36:39], a[48:55], a[8:15], v[36:39]// 000000006268: D3AD0024 1C921130
	s_mov_b32 s56, 0x1d000                                     // 000000006270: BEB800FF 0001D000
	s_mul_i32 s57, s7, 0x2400                                  // 000000006278: 9239FF07 00002400
	s_add_u32 m0, s56, s57                                     // 000000006280: 807C3938
	buffer_load_dwordx4 v30, s[20:23], 0 offen lds             // 000000006284: E05D1000 8005001E
	s_add_i32 m0, m0, 0x3c0                                    // 00000000628C: 817CFF7C 000003C0
	v_mfma_f32_16x16x128_f8f6f4 v[36:39], a[56:63], a[16:23], v[36:39]// 000000006294: D3AD0024 1C922138
	ds_read_b128 a[44:47], v20 offset:19456                    // 00000000629C: DBFE4C00 2C000014
	v_mfma_f32_16x16x128_f8f6f4 v[36:39], a[64:71], a[24:31], v[36:39]// 0000000062A4: D3AD0024 1C923140
	buffer_load_dwordx4 v30, s[20:23], 0 offen offset:64 lds   // 0000000062AC: E05D1040 8005001E
	s_add_i32 m0, m0, 0x3c0                                    // 0000000062B4: 817CFF7C 000003C0
	v_mfma_f32_16x16x128_f8f6f4 v[36:39], a[72:79], a[32:39], v[36:39]// 0000000062BC: D3AD0024 1C924148
	ds_read_b128 a[48:51], v20 offset:20480                    // 0000000062C4: DBFE5000 30000014
	v_mfma_f32_16x16x128_f8f6f4 v[40:43], a[80:87], a[0:7], 0  // 0000000062CC: D3AD0028 1A020150
	buffer_load_dwordx4 v30, s[20:23], 0 offen offset:128 lds  // 0000000062D4: E05D1080 8005001E
	s_add_i32 m0, m0, 0x3c0                                    // 0000000062DC: 817CFF7C 000003C0
	v_mfma_f32_16x16x128_f8f6f4 v[40:43], a[88:95], a[8:15], v[40:43]// 0000000062E4: D3AD0028 1CA21158
	ds_read_b128 a[52:55], v20 offset:21504                    // 0000000062EC: DBFE5400 34000014
	v_mfma_f32_16x16x128_f8f6f4 v[40:43], a[96:103], a[16:23], v[40:43]// 0000000062F4: D3AD0028 1CA22160
	buffer_load_dwordx4 v30, s[20:23], 0 offen offset:192 lds  // 0000000062FC: E05D10C0 8005001E
	s_add_i32 m0, m0, 0x3c0                                    // 000000006304: 817CFF7C 000003C0
	v_mfma_f32_16x16x128_f8f6f4 v[40:43], a[104:111], a[24:31], v[40:43]// 00000000630C: D3AD0028 1CA23168
	ds_read_b128 a[56:59], v20 offset:22528                    // 000000006314: DBFE5800 38000014
	v_mfma_f32_16x16x128_f8f6f4 v[40:43], a[112:119], a[32:39], v[40:43]// 00000000631C: D3AD0028 1CA24170
	buffer_load_dwordx4 v30, s[20:23], 0 offen offset:256 lds  // 000000006324: E05D1100 8005001E
	s_add_i32 m0, m0, 0x3c0                                    // 00000000632C: 817CFF7C 000003C0
	buffer_load_dwordx4 v30, s[20:23], 0 offen offset:320 lds  // 000000006334: E05D1140 8005001E
	s_add_i32 m0, m0, 0x3c0                                    // 00000000633C: 817CFF7C 000003C0
	buffer_load_dwordx4 v30, s[20:23], 0 offen offset:384 lds  // 000000006344: E05D1180 8005001E
	s_add_i32 m0, m0, 0x3c0                                    // 00000000634C: 817CFF7C 000003C0
	buffer_load_dwordx4 v30, s[20:23], 0 offen offset:448 lds  // 000000006354: E05D11C0 8005001E
	s_add_i32 m0, m0, 0x3c0                                    // 00000000635C: 817CFF7C 000003C0
	buffer_load_dwordx4 v30, s[20:23], 0 offen offset:512 lds  // 000000006364: E05D1200 8005001E
	s_add_i32 m0, m0, 0x3c0                                    // 00000000636C: 817CFF7C 000003C0
	ds_read_b128 a[60:63], v20 offset:23552                    // 000000006374: DBFE5C00 3C000014
	ds_read_b128 a[64:67], v20 offset:24576                    // 00000000637C: DBFE6000 40000014
	ds_read_b128 a[68:71], v20 offset:25600                    // 000000006384: DBFE6400 44000014
	ds_read_b128 a[72:75], v20 offset:26624                    // 00000000638C: DBFE6800 48000014
	ds_read_b128 a[80:83], v20 offset:27648                    // 000000006394: DBFE6C00 50000014
	ds_read_b128 a[84:87], v20 offset:28672                    // 00000000639C: DBFE7000 54000014
	ds_read_b128 a[88:91], v20 offset:29696                    // 0000000063A4: DBFE7400 58000014
	ds_read_b128 a[92:95], v20 offset:30720                    // 0000000063AC: DBFE7800 5C000014
	ds_read_b128 a[96:99], v20 offset:31744                    // 0000000063B4: DBFE7C00 60000014
	ds_read_b128 a[100:103], v20 offset:32768                  // 0000000063BC: DBFE8000 64000014
	ds_read_b128 a[104:107], v20 offset:33792                  // 0000000063C4: DBFE8400 68000014
	ds_read_b128 a[108:111], v20 offset:34816                  // 0000000063CC: DBFE8800 6C000014
	ds_read_b128 a[112:115], v20 offset:35840                  // 0000000063D4: DBFE8C00 70000014
	v_add_u32_e32 v26, s73, v26                                // 0000000063DC: 68343449
	s_waitcnt lgkmcnt(4)                                       // 0000000063E0: BF8CC47F
	v_mfma_f32_16x16x128_f8f6f4 v[44:47], a[40:47], a[0:7], 0  // 0000000063E4: D3AD002C 1A020128
	ds_read_b64_tr_b8 a[120:121], v6                           // 0000000063EC: DBC40000 78000006
	ds_read_b64_tr_b8 a[122:123], v7                           // 0000000063F4: DBC40000 7A000007
	ds_read_b64_tr_b8 a[124:125], v6 offset:18432              // 0000000063FC: DBC44800 7C000006
	ds_read_b64_tr_b8 a[126:127], v7 offset:18432              // 000000006404: DBC44800 7E000007
	v_mfma_f32_16x16x128_f8f6f4 v[44:47], a[48:55], a[8:15], v[44:47]// 00000000640C: D3AD002C 1CB21130
	v_mfma_f32_16x16x128_f8f6f4 v[44:47], a[56:63], a[16:23], v[44:47]// 000000006414: D3AD002C 1CB22138
	ds_read_b64_tr_b8 a[128:129], v8                           // 00000000641C: DBC40000 80000008
	ds_read_b64_tr_b8 a[130:131], v9                           // 000000006424: DBC40000 82000009
	ds_read_b64_tr_b8 a[132:133], v8 offset:18432              // 00000000642C: DBC44800 84000008
	ds_read_b64_tr_b8 a[134:135], v9 offset:18432              // 000000006434: DBC44800 86000009
	v_mfma_f32_16x16x128_f8f6f4 v[44:47], a[64:71], a[24:31], v[44:47]// 00000000643C: D3AD002C 1CB23140
	v_mfma_f32_16x16x128_f8f6f4 v[44:47], a[72:79], a[32:39], v[44:47]// 000000006444: D3AD002C 1CB24148
	ds_read_b64_tr_b8 a[136:137], v6 offset:1024               // 00000000644C: DBC40400 88000006
	ds_read_b64_tr_b8 a[138:139], v7 offset:1024               // 000000006454: DBC40400 8A000007
	ds_read_b64_tr_b8 a[140:141], v6 offset:19456              // 00000000645C: DBC44C00 8C000006
	ds_read_b64_tr_b8 a[142:143], v7 offset:19456              // 000000006464: DBC44C00 8E000007
	v_mfma_f32_16x16x128_f8f6f4 v[48:51], a[80:87], a[0:7], 0  // 00000000646C: D3AD0030 1A020150
	v_mfma_f32_16x16x128_f8f6f4 v[48:51], a[88:95], a[8:15], v[48:51]// 000000006474: D3AD0030 1CC21158
	ds_read_b64_tr_b8 a[144:145], v8 offset:1024               // 00000000647C: DBC40400 90000008
	ds_read_b64_tr_b8 a[146:147], v9 offset:1024               // 000000006484: DBC40400 92000009
	ds_read_b64_tr_b8 a[148:149], v8 offset:19456              // 00000000648C: DBC44C00 94000008
	ds_read_b64_tr_b8 a[150:151], v9 offset:19456              // 000000006494: DBC44C00 96000009
	v_mfma_f32_16x16x128_f8f6f4 v[48:51], a[96:103], a[16:23], v[48:51]// 00000000649C: D3AD0030 1CC22160
	v_mfma_f32_16x16x128_f8f6f4 v[48:51], a[104:111], a[24:31], v[48:51]// 0000000064A4: D3AD0030 1CC23168
	ds_read_b64_tr_b8 a[152:153], v6 offset:2048               // 0000000064AC: DBC40800 98000006
	ds_read_b64_tr_b8 a[154:155], v7 offset:2048               // 0000000064B4: DBC40800 9A000007
	ds_read_b64_tr_b8 a[156:157], v6 offset:20480              // 0000000064BC: DBC45000 9C000006
	ds_read_b64_tr_b8 a[158:159], v7 offset:20480              // 0000000064C4: DBC45000 9E000007
	v_mfma_f32_16x16x128_f8f6f4 v[48:51], a[112:119], a[32:39], v[48:51]// 0000000064CC: D3AD0030 1CC24170
	ds_read_b64_tr_b8 a[160:161], v8 offset:2048               // 0000000064D4: DBC40800 A0000008
	ds_read_b64_tr_b8 a[162:163], v9 offset:2048               // 0000000064DC: DBC40800 A2000009
	ds_read_b64_tr_b8 a[164:165], v8 offset:20480              // 0000000064E4: DBC45000 A4000008
	ds_read_b64_tr_b8 a[166:167], v9 offset:20480              // 0000000064EC: DBC45000 A6000009
	ds_read_b64_tr_b8 a[168:169], v6 offset:3072               // 0000000064F4: DBC40C00 A8000006
	ds_read_b64_tr_b8 a[170:171], v7 offset:3072               // 0000000064FC: DBC40C00 AA000007
	ds_read_b64_tr_b8 a[172:173], v6 offset:21504              // 000000006504: DBC45400 AC000006
	ds_read_b64_tr_b8 a[174:175], v7 offset:21504              // 00000000650C: DBC45400 AE000007
	ds_read_b64_tr_b8 a[176:177], v8 offset:3072               // 000000006514: DBC40C00 B0000008
	ds_read_b64_tr_b8 a[178:179], v9 offset:3072               // 00000000651C: DBC40C00 B2000009
	ds_read_b64_tr_b8 a[180:181], v8 offset:21504              // 000000006524: DBC45400 B4000008
	ds_read_b64_tr_b8 a[182:183], v9 offset:21504              // 00000000652C: DBC45400 B6000009
	s_cmp_le_i32 s83, s82                                      // 000000006534: BF055253
	s_cbranch_scc1 label_42E8                                  // 000000006538: BF85006B
	v_mov_b32_e32 v27, s82                                     // 00000000653C: 7E360252
	v_add_u32_e32 v27, s7, v27                                 // 000000006540: 68363607
	s_sub_u32 s56, s83, 63                                     // 000000006544: 80B8BF53
	v_lshrrev_b32_e32 v20, 4, v0                               // 000000006548: 20280084
	v_mul_i32_i24_e32 v20, 4, v20                              // 00000000654C: 0C282884
	v_add_u32_e32 v20, s56, v20                                // 000000006550: 68282838
	v_add_u32_e32 v21, 1, v20                                  // 000000006554: 682A2881
	v_add_u32_e32 v22, 2, v20                                  // 000000006558: 682C2882
	v_add_u32_e32 v23, 3, v20                                  // 00000000655C: 682E2883
	v_mov_b32_e32 v28, 0xff800000                              // 000000006560: 7E3802FF FF800000
	v_cmp_le_u32_e64 s[36:37], v20, v27                        // 000000006568: D0CB0024 00023714
	v_add_u32_e32 v20, 16, v20                                 // 000000006570: 68282890
	s_nop 0                                                    // 000000006574: BF800000
	v_cndmask_b32_e64 v36, v28, v36, s[36:37]                  // 000000006578: D1000024 0092491C
	v_cmp_le_u32_e64 s[36:37], v21, v27                        // 000000006580: D0CB0024 00023715
	v_add_u32_e32 v21, 16, v21                                 // 000000006588: 682A2A90
	s_nop 0                                                    // 00000000658C: BF800000
	v_cndmask_b32_e64 v37, v28, v37, s[36:37]                  // 000000006590: D1000025 00924B1C
	v_cmp_le_u32_e64 s[36:37], v22, v27                        // 000000006598: D0CB0024 00023716
	v_add_u32_e32 v22, 16, v22                                 // 0000000065A0: 682C2C90
	s_nop 0                                                    // 0000000065A4: BF800000
	v_cndmask_b32_e64 v38, v28, v38, s[36:37]                  // 0000000065A8: D1000026 00924D1C
	v_cmp_le_u32_e64 s[36:37], v23, v27                        // 0000000065B0: D0CB0024 00023717
	v_add_u32_e32 v23, 16, v23                                 // 0000000065B8: 682E2E90
	s_nop 0                                                    // 0000000065BC: BF800000
	v_cndmask_b32_e64 v39, v28, v39, s[36:37]                  // 0000000065C0: D1000027 00924F1C
	v_cmp_le_u32_e64 s[36:37], v20, v27                        // 0000000065C8: D0CB0024 00023714
	v_add_u32_e32 v20, 16, v20                                 // 0000000065D0: 68282890
	s_nop 0                                                    // 0000000065D4: BF800000
	v_cndmask_b32_e64 v40, v28, v40, s[36:37]                  // 0000000065D8: D1000028 0092511C
	v_cmp_le_u32_e64 s[36:37], v21, v27                        // 0000000065E0: D0CB0024 00023715
	v_add_u32_e32 v21, 16, v21                                 // 0000000065E8: 682A2A90
	s_nop 0                                                    // 0000000065EC: BF800000
	v_cndmask_b32_e64 v41, v28, v41, s[36:37]                  // 0000000065F0: D1000029 0092531C
	v_cmp_le_u32_e64 s[36:37], v22, v27                        // 0000000065F8: D0CB0024 00023716
	v_add_u32_e32 v22, 16, v22                                 // 000000006600: 682C2C90
	s_nop 0                                                    // 000000006604: BF800000
	v_cndmask_b32_e64 v42, v28, v42, s[36:37]                  // 000000006608: D100002A 0092551C
	v_cmp_le_u32_e64 s[36:37], v23, v27                        // 000000006610: D0CB0024 00023717
	v_add_u32_e32 v23, 16, v23                                 // 000000006618: 682E2E90
	s_nop 0                                                    // 00000000661C: BF800000
	v_cndmask_b32_e64 v43, v28, v43, s[36:37]                  // 000000006620: D100002B 0092571C
	v_cmp_le_u32_e64 s[36:37], v20, v27                        // 000000006628: D0CB0024 00023714
	v_add_u32_e32 v20, 16, v20                                 // 000000006630: 68282890
	s_nop 0                                                    // 000000006634: BF800000
	v_cndmask_b32_e64 v44, v28, v44, s[36:37]                  // 000000006638: D100002C 0092591C
	v_cmp_le_u32_e64 s[36:37], v21, v27                        // 000000006640: D0CB0024 00023715
	v_add_u32_e32 v21, 16, v21                                 // 000000006648: 682A2A90
	s_nop 0                                                    // 00000000664C: BF800000
	v_cndmask_b32_e64 v45, v28, v45, s[36:37]                  // 000000006650: D100002D 00925B1C
	v_cmp_le_u32_e64 s[36:37], v22, v27                        // 000000006658: D0CB0024 00023716
	v_add_u32_e32 v22, 16, v22                                 // 000000006660: 682C2C90
	s_nop 0                                                    // 000000006664: BF800000
	v_cndmask_b32_e64 v46, v28, v46, s[36:37]                  // 000000006668: D100002E 00925D1C
	v_cmp_le_u32_e64 s[36:37], v23, v27                        // 000000006670: D0CB0024 00023717
	v_add_u32_e32 v23, 16, v23                                 // 000000006678: 682E2E90
	s_nop 0                                                    // 00000000667C: BF800000
	v_cndmask_b32_e64 v47, v28, v47, s[36:37]                  // 000000006680: D100002F 00925F1C
	v_cmp_le_u32_e64 s[36:37], v20, v27                        // 000000006688: D0CB0024 00023714
	v_add_u32_e32 v20, 16, v20                                 // 000000006690: 68282890
	s_nop 0                                                    // 000000006694: BF800000
	v_cndmask_b32_e64 v48, v28, v48, s[36:37]                  // 000000006698: D1000030 0092611C
	v_cmp_le_u32_e64 s[36:37], v21, v27                        // 0000000066A0: D0CB0024 00023715
	v_add_u32_e32 v21, 16, v21                                 // 0000000066A8: 682A2A90
	s_nop 0                                                    // 0000000066AC: BF800000
	v_cndmask_b32_e64 v49, v28, v49, s[36:37]                  // 0000000066B0: D1000031 0092631C
	v_cmp_le_u32_e64 s[36:37], v22, v27                        // 0000000066B8: D0CB0024 00023716
	v_add_u32_e32 v22, 16, v22                                 // 0000000066C0: 682C2C90
	s_nop 0                                                    // 0000000066C4: BF800000
	v_cndmask_b32_e64 v50, v28, v50, s[36:37]                  // 0000000066C8: D1000032 0092651C
	v_cmp_le_u32_e64 s[36:37], v23, v27                        // 0000000066D0: D0CB0024 00023717
	v_add_u32_e32 v23, 16, v23                                 // 0000000066D8: 682E2E90
	s_nop 0                                                    // 0000000066DC: BF800000
	v_cndmask_b32_e64 v51, v28, v51, s[36:37]                  // 0000000066E0: D1000033 0092671C

00000000000066e8 <label_42E8>:
	s_add_u32 s83, s84, s83                                    // 0000000066E8: 80535354
	s_nop 2                                                    // 0000000066EC: BF800002
	v_mov_b32_e32 v28, v36                                     // 0000000066F0: 7E380324
	v_max3_f32 v28, v36, v37, v28                              // 0000000066F4: D1D3001C 04724B24
	v_max3_f32 v28, v38, v39, v28                              // 0000000066FC: D1D3001C 04724F26
	v_max3_f32 v28, v40, v41, v28                              // 000000006704: D1D3001C 04725328
	v_max3_f32 v28, v42, v43, v28                              // 00000000670C: D1D3001C 0472572A
	v_max3_f32 v28, v44, v45, v28                              // 000000006714: D1D3001C 04725B2C
	v_max3_f32 v28, v46, v47, v28                              // 00000000671C: D1D3001C 04725F2E
	v_max3_f32 v28, v48, v49, v28                              // 000000006724: D1D3001C 04726330
	v_max3_f32 v28, v50, v51, v28                              // 00000000672C: D1D3001C 04726732
	v_mov_b32_e32 v27, v28                                     // 000000006734: 7E36031C
	v_mov_b32_e32 v28, v28                                     // 000000006738: 7E38031C
	s_nop 1                                                    // 00000000673C: BF800001
	v_permlane16_swap_b32_e32 v27, v28                         // 000000006740: 7E36B31C
	v_mov_b32_e32 v30, v27                                     // 000000006744: 7E3C031B
	v_mov_b32_e32 v29, v28                                     // 000000006748: 7E3A031C
	s_nop 1                                                    // 00000000674C: BF800001
	v_permlane32_swap_b32_e32 v27, v28                         // 000000006750: 7E36B51C
	v_permlane32_swap_b32_e32 v29, v30                         // 000000006754: 7E3AB51E
	v_max3_f32 v28, v27, v28, v28                              // 000000006758: D1D3001C 0472391B
	v_max3_f32 v28, v29, v30, v28                              // 000000006760: D1D3001C 04723D1D
	v_mov_b32_e32 v27, 0xff800000                              // 000000006768: 7E3602FF FF800000
	v_cmp_eq_u32_e64 s[36:37], v27, v2                         // 000000006770: D0CA0024 0002051B
	v_max_f32_e32 v28, v28, v2                                 // 000000006778: 1638051C
	v_sub_f32_e32 v18, v2, v28                                 // 00000000677C: 04243902
	v_cndmask_b32_e64 v18, v18, 0, s[36:37]                    // 000000006780: D1000012 00910112
	v_mov_b32_e32 v2, v28                                      // 000000006788: 7E04031C
	v_mul_f32_e32 v28, s5, v28                                 // 00000000678C: 0A383805
	v_mul_f32_e32 v18, s5, v18                                 // 000000006790: 0A242405
	v_exp_f32_e32 v18, v18                                     // 000000006794: 7E244112
	v_fma_f32 v36, v36, s5, -v28                               // 000000006798: D1CB0024 84700B24
	v_fma_f32 v37, v37, s5, -v28                               // 0000000067A0: D1CB0025 84700B25
	v_fma_f32 v38, v38, s5, -v28                               // 0000000067A8: D1CB0026 84700B26
	v_fma_f32 v39, v39, s5, -v28                               // 0000000067B0: D1CB0027 84700B27
	v_fma_f32 v40, v40, s5, -v28                               // 0000000067B8: D1CB0028 84700B28
	v_fma_f32 v41, v41, s5, -v28                               // 0000000067C0: D1CB0029 84700B29
	v_fma_f32 v42, v42, s5, -v28                               // 0000000067C8: D1CB002A 84700B2A
	v_fma_f32 v43, v43, s5, -v28                               // 0000000067D0: D1CB002B 84700B2B
	v_fma_f32 v44, v44, s5, -v28                               // 0000000067D8: D1CB002C 84700B2C
	v_fma_f32 v45, v45, s5, -v28                               // 0000000067E0: D1CB002D 84700B2D
	v_fma_f32 v46, v46, s5, -v28                               // 0000000067E8: D1CB002E 84700B2E
	v_fma_f32 v47, v47, s5, -v28                               // 0000000067F0: D1CB002F 84700B2F
	v_fma_f32 v48, v48, s5, -v28                               // 0000000067F8: D1CB0030 84700B30
	v_fma_f32 v49, v49, s5, -v28                               // 000000006800: D1CB0031 84700B31
	v_fma_f32 v50, v50, s5, -v28                               // 000000006808: D1CB0032 84700B32
	v_fma_f32 v51, v51, s5, -v28                               // 000000006810: D1CB0033 84700B33
	v_exp_f32_e32 v36, v36                                     // 000000006818: 7E484124
	v_exp_f32_e32 v37, v37                                     // 00000000681C: 7E4A4125
	v_exp_f32_e32 v38, v38                                     // 000000006820: 7E4C4126
	v_exp_f32_e32 v39, v39                                     // 000000006824: 7E4E4127
	v_exp_f32_e32 v40, v40                                     // 000000006828: 7E504128
	v_exp_f32_e32 v41, v41                                     // 00000000682C: 7E524129
	v_exp_f32_e32 v42, v42                                     // 000000006830: 7E54412A
	v_exp_f32_e32 v43, v43                                     // 000000006834: 7E56412B
	v_exp_f32_e32 v44, v44                                     // 000000006838: 7E58412C
	v_exp_f32_e32 v45, v45                                     // 00000000683C: 7E5A412D
	v_exp_f32_e32 v46, v46                                     // 000000006840: 7E5C412E
	v_exp_f32_e32 v47, v47                                     // 000000006844: 7E5E412F
	v_exp_f32_e32 v48, v48                                     // 000000006848: 7E604130
	v_exp_f32_e32 v49, v49                                     // 00000000684C: 7E624131
	v_exp_f32_e32 v50, v50                                     // 000000006850: 7E644132
	v_exp_f32_e32 v51, v51                                     // 000000006854: 7E664133
	v_mul_f32_e32 v4, v18, v4                                  // 000000006858: 0A080912
	v_mov_b32_e32 v27, v36                                     // 00000000685C: 7E360324
	v_add_f32_e32 v27, v37, v27                                // 000000006860: 02363725
	v_add_f32_e32 v27, v38, v27                                // 000000006864: 02363726
	;; [unrolled: 1-line block ×3, first 2 shown]
	v_add_f32_e32 v27, v40, v27                                // 00000000686C: 02363728
	v_add_f32_e32 v27, v41, v27                                // 000000006870: 02363729
	v_add_f32_e32 v27, v42, v27                                // 000000006874: 0236372A
	v_add_f32_e32 v27, v43, v27                                // 000000006878: 0236372B
	v_add_f32_e32 v27, v44, v27                                // 00000000687C: 0236372C
	v_add_f32_e32 v27, v45, v27                                // 000000006880: 0236372D
	v_add_f32_e32 v27, v46, v27                                // 000000006884: 0236372E
	v_add_f32_e32 v27, v47, v27                                // 000000006888: 0236372F
	v_add_f32_e32 v27, v48, v27                                // 00000000688C: 02363730
	v_add_f32_e32 v27, v49, v27                                // 000000006890: 02363731
	v_add_f32_e32 v27, v50, v27                                // 000000006894: 02363732
	;; [unrolled: 1-line block ×3, first 2 shown]
	v_add_f32_e32 v4, v27, v4                                  // 00000000689C: 0208091B
	v_cvt_pk_fp8_f32 v36, v36, v37                             // 0000000068A0: D2A20024 00024B24
	v_cvt_pk_fp8_f32 v36, v38, v39 op_sel:[0,0,1]              // 0000000068A8: D2A24024 00024F26
	v_cvt_pk_fp8_f32 v37, v40, v41                             // 0000000068B0: D2A20025 00025328
	v_cvt_pk_fp8_f32 v37, v42, v43 op_sel:[0,0,1]              // 0000000068B8: D2A24025 0002572A
	v_cvt_pk_fp8_f32 v38, v44, v45                             // 0000000068C0: D2A20026 00025B2C
	v_cvt_pk_fp8_f32 v38, v46, v47 op_sel:[0,0,1]              // 0000000068C8: D2A24026 00025F2E
	v_cvt_pk_fp8_f32 v39, v48, v49                             // 0000000068D0: D2A20027 00026330
	v_cvt_pk_fp8_f32 v39, v50, v51 op_sel:[0,0,1]              // 0000000068D8: D2A24027 00026732
	s_nop 0                                                    // 0000000068E0: BF800000
	v_permlane16_swap_b32_e32 v36, v37                         // 0000000068E4: 7E48B325
	v_permlane16_swap_b32_e32 v38, v39                         // 0000000068E8: 7E4CB327
	s_nop 0                                                    // 0000000068EC: BF800000
	v_permlane32_swap_b32_e32 v36, v38                         // 0000000068F0: 7E48B526
	v_permlane32_swap_b32_e32 v37, v39                         // 0000000068F4: 7E4AB527
	ds_write_b128 v32, v[36:39]                                // 0000000068F8: D9BE0000 00002420
	s_waitcnt lgkmcnt(0)                                       // 000000006900: BF8CC07F
	s_barrier                                                  // 000000006904: BF8A0000
	ds_read_b128 v[36:39], v33                                 // 000000006908: D9FE0000 24000021
	ds_read_b128 v[40:43], v33 offset:1024                     // 000000006910: D9FE0400 28000021
	s_waitcnt lgkmcnt(0)                                       // 000000006918: BF8CC07F
	v_permlane16_swap_b32_e32 v36, v40                         // 00000000691C: 7E48B328
	v_permlane16_swap_b32_e32 v37, v41                         // 000000006920: 7E4AB329
	v_permlane16_swap_b32_e32 v38, v42                         // 000000006924: 7E4CB32A
	v_permlane16_swap_b32_e32 v39, v43                         // 000000006928: 7E4EB32B
	v_permlane32_swap_b32_e32 v36, v40                         // 00000000692C: 7E48B528
	v_permlane32_swap_b32_e32 v37, v41                         // 000000006930: 7E4AB529
	v_permlane32_swap_b32_e32 v38, v42                         // 000000006934: 7E4CB52A
	v_permlane32_swap_b32_e32 v39, v43                         // 000000006938: 7E4EB52B
	ds_write_b32 v34, v18                                      // 00000000693C: D81A0000 00001222
	s_waitcnt lgkmcnt(0)                                       // 000000006944: BF8CC07F
	s_barrier                                                  // 000000006948: BF8A0000
	ds_read_b32 v27, v35                                       // 00000000694C: D86C0000 1B000023
	s_waitcnt lgkmcnt(0)                                       // 000000006954: BF8CC07F
	v_mul_f32_e32 v52, v27, v52                                // 000000006958: 0A68691B
	v_mul_f32_e32 v53, v27, v53                                // 00000000695C: 0A6A6B1B
	v_mul_f32_e32 v54, v27, v54                                // 000000006960: 0A6C6D1B
	v_mul_f32_e32 v55, v27, v55                                // 000000006964: 0A6E6F1B
	v_mul_f32_e32 v56, v27, v56                                // 000000006968: 0A70711B
	v_mul_f32_e32 v57, v27, v57                                // 00000000696C: 0A72731B
	v_mul_f32_e32 v58, v27, v58                                // 000000006970: 0A74751B
	v_mul_f32_e32 v59, v27, v59                                // 000000006974: 0A76771B
	v_mul_f32_e32 v60, v27, v60                                // 000000006978: 0A78791B
	v_mul_f32_e32 v61, v27, v61                                // 00000000697C: 0A7A7B1B
	v_mul_f32_e32 v62, v27, v62                                // 000000006980: 0A7C7D1B
	v_mul_f32_e32 v63, v27, v63                                // 000000006984: 0A7E7F1B
	v_mul_f32_e32 v64, v27, v64                                // 000000006988: 0A80811B
	v_mul_f32_e32 v65, v27, v65                                // 00000000698C: 0A82831B
	v_mul_f32_e32 v66, v27, v66                                // 000000006990: 0A84851B
	v_mul_f32_e32 v67, v27, v67                                // 000000006994: 0A86871B
	v_mul_f32_e32 v68, v27, v68                                // 000000006998: 0A88891B
	v_mul_f32_e32 v69, v27, v69                                // 00000000699C: 0A8A8B1B
	v_mul_f32_e32 v70, v27, v70                                // 0000000069A0: 0A8C8D1B
	v_mul_f32_e32 v71, v27, v71                                // 0000000069A4: 0A8E8F1B
	v_mul_f32_e32 v72, v27, v72                                // 0000000069A8: 0A90911B
	v_mul_f32_e32 v73, v27, v73                                // 0000000069AC: 0A92931B
	v_mul_f32_e32 v74, v27, v74                                // 0000000069B0: 0A94951B
	v_mul_f32_e32 v75, v27, v75                                // 0000000069B4: 0A96971B
	v_mul_f32_e32 v76, v27, v76                                // 0000000069B8: 0A98991B
	v_mul_f32_e32 v77, v27, v77                                // 0000000069BC: 0A9A9B1B
	v_mul_f32_e32 v78, v27, v78                                // 0000000069C0: 0A9C9D1B
	v_mul_f32_e32 v79, v27, v79                                // 0000000069C4: 0A9E9F1B
	v_mul_f32_e32 v80, v27, v80                                // 0000000069C8: 0AA0A11B
	v_mul_f32_e32 v81, v27, v81                                // 0000000069CC: 0AA2A31B
	v_mul_f32_e32 v82, v27, v82                                // 0000000069D0: 0AA4A51B
	v_mul_f32_e32 v83, v27, v83                                // 0000000069D4: 0AA6A71B
	v_mul_f32_e32 v84, v27, v84                                // 0000000069D8: 0AA8A91B
	v_mul_f32_e32 v85, v27, v85                                // 0000000069DC: 0AAAAB1B
	v_mul_f32_e32 v86, v27, v86                                // 0000000069E0: 0AACAD1B
	v_mul_f32_e32 v87, v27, v87                                // 0000000069E4: 0AAEAF1B
	v_mul_f32_e32 v88, v27, v88                                // 0000000069E8: 0AB0B11B
	v_mul_f32_e32 v89, v27, v89                                // 0000000069EC: 0AB2B31B
	v_mul_f32_e32 v90, v27, v90                                // 0000000069F0: 0AB4B51B
	v_mul_f32_e32 v91, v27, v91                                // 0000000069F4: 0AB6B71B
	v_mul_f32_e32 v92, v27, v92                                // 0000000069F8: 0AB8B91B
	v_mul_f32_e32 v93, v27, v93                                // 0000000069FC: 0ABABB1B
	v_mul_f32_e32 v94, v27, v94                                // 000000006A00: 0ABCBD1B
	v_mul_f32_e32 v95, v27, v95                                // 000000006A04: 0ABEBF1B
	v_mul_f32_e32 v96, v27, v96                                // 000000006A08: 0AC0C11B
	v_mul_f32_e32 v97, v27, v97                                // 000000006A0C: 0AC2C31B
	v_mul_f32_e32 v98, v27, v98                                // 000000006A10: 0AC4C51B
	v_mul_f32_e32 v99, v27, v99                                // 000000006A14: 0AC6C71B
	v_mul_f32_e32 v100, v27, v100                              // 000000006A18: 0AC8C91B
	v_mul_f32_e32 v101, v27, v101                              // 000000006A1C: 0ACACB1B
	v_mul_f32_e32 v102, v27, v102                              // 000000006A20: 0ACCCD1B
	v_mul_f32_e32 v103, v27, v103                              // 000000006A24: 0ACECF1B
	v_mul_f32_e32 v104, v27, v104                              // 000000006A28: 0AD0D11B
	v_mul_f32_e32 v105, v27, v105                              // 000000006A2C: 0AD2D31B
	v_mul_f32_e32 v106, v27, v106                              // 000000006A30: 0AD4D51B
	v_mul_f32_e32 v107, v27, v107                              // 000000006A34: 0AD6D71B
	v_mul_f32_e32 v108, v27, v108                              // 000000006A38: 0AD8D91B
	v_mul_f32_e32 v109, v27, v109                              // 000000006A3C: 0ADADB1B
	v_mul_f32_e32 v110, v27, v110                              // 000000006A40: 0ADCDD1B
	v_mul_f32_e32 v111, v27, v111                              // 000000006A44: 0ADEDF1B
	v_mul_f32_e32 v112, v27, v112                              // 000000006A48: 0AE0E11B
	v_mul_f32_e32 v113, v27, v113                              // 000000006A4C: 0AE2E31B
	v_mul_f32_e32 v114, v27, v114                              // 000000006A50: 0AE4E51B
	v_mul_f32_e32 v115, v27, v115                              // 000000006A54: 0AE6E71B
	v_mul_f32_e32 v116, v27, v116                              // 000000006A58: 0AE8E91B
	v_mul_f32_e32 v117, v27, v117                              // 000000006A5C: 0AEAEB1B
	v_mul_f32_e32 v118, v27, v118                              // 000000006A60: 0AECED1B
	v_mul_f32_e32 v119, v27, v119                              // 000000006A64: 0AEEEF1B
	v_mul_f32_e32 v120, v27, v120                              // 000000006A68: 0AF0F11B
	v_mul_f32_e32 v121, v27, v121                              // 000000006A6C: 0AF2F31B
	v_mul_f32_e32 v122, v27, v122                              // 000000006A70: 0AF4F51B
	v_mul_f32_e32 v123, v27, v123                              // 000000006A74: 0AF6F71B
	v_mul_f32_e32 v124, v27, v124                              // 000000006A78: 0AF8F91B
	v_mul_f32_e32 v125, v27, v125                              // 000000006A7C: 0AFAFB1B
	v_mul_f32_e32 v126, v27, v126                              // 000000006A80: 0AFCFD1B
	v_mul_f32_e32 v127, v27, v127                              // 000000006A84: 0AFEFF1B
	v_mul_f32_e32 v128, v27, v128                              // 000000006A88: 0B01011B
	v_mul_f32_e32 v129, v27, v129                              // 000000006A8C: 0B03031B
	v_mul_f32_e32 v130, v27, v130                              // 000000006A90: 0B05051B
	v_mul_f32_e32 v131, v27, v131                              // 000000006A94: 0B07071B
	v_mul_f32_e32 v132, v27, v132                              // 000000006A98: 0B09091B
	v_mul_f32_e32 v133, v27, v133                              // 000000006A9C: 0B0B0B1B
	v_mul_f32_e32 v134, v27, v134                              // 000000006AA0: 0B0D0D1B
	v_mul_f32_e32 v135, v27, v135                              // 000000006AA4: 0B0F0F1B
	v_mul_f32_e32 v136, v27, v136                              // 000000006AA8: 0B11111B
	v_mul_f32_e32 v137, v27, v137                              // 000000006AAC: 0B13131B
	v_mul_f32_e32 v138, v27, v138                              // 000000006AB0: 0B15151B
	v_mul_f32_e32 v139, v27, v139                              // 000000006AB4: 0B17171B
	v_mul_f32_e32 v140, v27, v140                              // 000000006AB8: 0B19191B
	v_mul_f32_e32 v141, v27, v141                              // 000000006ABC: 0B1B1B1B
	v_mul_f32_e32 v142, v27, v142                              // 000000006AC0: 0B1D1D1B
	v_mul_f32_e32 v143, v27, v143                              // 000000006AC4: 0B1F1F1B
	v_mul_f32_e32 v144, v27, v144                              // 000000006AC8: 0B21211B
	v_mul_f32_e32 v145, v27, v145                              // 000000006ACC: 0B23231B
	v_mul_f32_e32 v146, v27, v146                              // 000000006AD0: 0B25251B
	v_mul_f32_e32 v147, v27, v147                              // 000000006AD4: 0B27271B
	v_mul_f32_e32 v148, v27, v148                              // 000000006AD8: 0B29291B
	v_mul_f32_e32 v149, v27, v149                              // 000000006ADC: 0B2B2B1B
	v_mul_f32_e32 v150, v27, v150                              // 000000006AE0: 0B2D2D1B
	v_mul_f32_e32 v151, v27, v151                              // 000000006AE4: 0B2F2F1B
	v_mul_f32_e32 v152, v27, v152                              // 000000006AE8: 0B31311B
	v_mul_f32_e32 v153, v27, v153                              // 000000006AEC: 0B33331B
	v_mul_f32_e32 v154, v27, v154                              // 000000006AF0: 0B35351B
	v_mul_f32_e32 v155, v27, v155                              // 000000006AF4: 0B37371B
	v_mul_f32_e32 v156, v27, v156                              // 000000006AF8: 0B39391B
	v_mul_f32_e32 v157, v27, v157                              // 000000006AFC: 0B3B3B1B
	v_mul_f32_e32 v158, v27, v158                              // 000000006B00: 0B3D3D1B
	v_mul_f32_e32 v159, v27, v159                              // 000000006B04: 0B3F3F1B
	v_mul_f32_e32 v160, v27, v160                              // 000000006B08: 0B41411B
	v_mul_f32_e32 v161, v27, v161                              // 000000006B0C: 0B43431B
	v_mul_f32_e32 v162, v27, v162                              // 000000006B10: 0B45451B
	v_mul_f32_e32 v163, v27, v163                              // 000000006B14: 0B47471B
	v_mul_f32_e32 v164, v27, v164                              // 000000006B18: 0B49491B
	v_mul_f32_e32 v165, v27, v165                              // 000000006B1C: 0B4B4B1B
	v_mul_f32_e32 v166, v27, v166                              // 000000006B20: 0B4D4D1B
	v_mul_f32_e32 v167, v27, v167                              // 000000006B24: 0B4F4F1B
	v_mul_f32_e32 v168, v27, v168                              // 000000006B28: 0B51511B
	v_mul_f32_e32 v169, v27, v169                              // 000000006B2C: 0B53531B
	v_mul_f32_e32 v170, v27, v170                              // 000000006B30: 0B55551B
	v_mul_f32_e32 v171, v27, v171                              // 000000006B34: 0B57571B
	v_mul_f32_e32 v172, v27, v172                              // 000000006B38: 0B59591B
	v_mul_f32_e32 v173, v27, v173                              // 000000006B3C: 0B5B5B1B
	v_mul_f32_e32 v174, v27, v174                              // 000000006B40: 0B5D5D1B
	v_mul_f32_e32 v175, v27, v175                              // 000000006B44: 0B5F5F1B
	v_mul_f32_e32 v176, v27, v176                              // 000000006B48: 0B61611B
	v_mul_f32_e32 v177, v27, v177                              // 000000006B4C: 0B63631B
	v_mul_f32_e32 v178, v27, v178                              // 000000006B50: 0B65651B
	v_mul_f32_e32 v179, v27, v179                              // 000000006B54: 0B67671B
	s_waitcnt lgkmcnt(0)                                       // 000000006B58: BF8CC07F
	v_mfma_f32_32x32x64_f8f6f4 v[52:67], a[120:127], v[36:43], v[52:67]// 000000006B5C: D3AE0034 0CD24978
	v_mfma_f32_32x32x64_f8f6f4 v[68:83], a[128:135], v[36:43], v[68:83]// 000000006B64: D3AE0044 0D124980
	v_mfma_f32_32x32x64_f8f6f4 v[84:99], a[136:143], v[36:43], v[84:99]// 000000006B6C: D3AE0054 0D524988
	v_mfma_f32_32x32x64_f8f6f4 v[100:115], a[144:151], v[36:43], v[100:115]// 000000006B74: D3AE0064 0D924990
	v_mfma_f32_32x32x64_f8f6f4 v[116:131], a[152:159], v[36:43], v[116:131]// 000000006B7C: D3AE0074 0DD24998
	v_mfma_f32_32x32x64_f8f6f4 v[132:147], a[160:167], v[36:43], v[132:147]// 000000006B84: D3AE0084 0E1249A0
	v_mfma_f32_32x32x64_f8f6f4 v[148:163], a[168:175], v[36:43], v[148:163]// 000000006B8C: D3AE0094 0E5249A8
	v_mfma_f32_32x32x64_f8f6f4 v[164:179], a[176:183], v[36:43], v[164:179]// 000000006B94: D3AE00A4 0E9249B0
	s_waitcnt lgkmcnt(0)                                       // 000000006B9C: BF8CC07F
	s_waitcnt vmcnt(10)                                        // 000000006BA0: BF8C0F7A
	s_barrier                                                  // 000000006BA4: BF8A0000
	ds_read_b128 a[40:43], v21                                 // 000000006BA8: DBFE0000 28000015
	ds_read_b128 a[44:47], v21 offset:1024                     // 000000006BB0: DBFE0400 2C000015
	ds_read_b128 a[48:51], v21 offset:2048                     // 000000006BB8: DBFE0800 30000015
	ds_read_b128 a[52:55], v21 offset:3072                     // 000000006BC0: DBFE0C00 34000015
	ds_read_b128 a[56:59], v21 offset:4096                     // 000000006BC8: DBFE1000 38000015
	ds_read_b128 a[60:63], v21 offset:5120                     // 000000006BD0: DBFE1400 3C000015
	ds_read_b128 a[64:67], v21 offset:6144                     // 000000006BD8: DBFE1800 40000015
	ds_read_b128 a[68:71], v21 offset:7168                     // 000000006BE0: DBFE1C00 44000015
	ds_read_b128 a[72:75], v21 offset:8192                     // 000000006BE8: DBFE2000 48000015
	ds_read_b128 a[80:83], v21 offset:9216                     // 000000006BF0: DBFE2400 50000015
	ds_read_b128 a[84:87], v21 offset:10240                    // 000000006BF8: DBFE2800 54000015
	ds_read_b128 a[88:91], v21 offset:11264                    // 000000006C00: DBFE2C00 58000015
	ds_read_b128 a[92:95], v21 offset:12288                    // 000000006C08: DBFE3000 5C000015
	ds_read_b128 a[96:99], v21 offset:13312                    // 000000006C10: DBFE3400 60000015
	ds_read_b128 a[100:103], v21 offset:14336                  // 000000006C18: DBFE3800 64000015
	ds_read_b128 a[104:107], v21 offset:15360                  // 000000006C20: DBFE3C00 68000015
	ds_read_b128 a[108:111], v21 offset:16384                  // 000000006C28: DBFE4000 6C000015
	ds_read_b128 a[112:115], v21 offset:17408                  // 000000006C30: DBFE4400 70000015
	s_addk_i32 s70, 0x1                                        // 000000006C38: B7460001
	s_cmp_lt_i32 s70, s71                                      // 000000006C3C: BF044746
	s_cbranch_scc0 label_2A2C                                  // 000000006C40: BF84F87A
	s_branch label_2A38                                        // 000000006C44: BF82F87C

0000000000006c48 <label_4848>:
	s_cmp_eq_i32 s48, 0                                        // 000000006C48: BF008030
	s_cbranch_scc1 label_69EC                                  // 000000006C4C: BF8507E5

0000000000006c50 <label_4850>:
	s_mov_b32 s37, 3                                           // 000000006C50: BEA50083
	s_mov_b32 s36, s71                                         // 000000006C54: BEA40047
	v_cvt_f32_u32_e32 v27, s37                                 // 000000006C58: 7E360C25
	s_sub_i32 s56, 0, s37                                      // 000000006C5C: 81B82580
	v_rcp_iflag_f32_e32 v27, v27                               // 000000006C60: 7E36471B
	s_nop 0                                                    // 000000006C64: BF800000
	v_mul_f32_e32 v27, 0x4f7ffffe, v27                         // 000000006C68: 0A3636FF 4F7FFFFE
	v_cvt_u32_f32_e32 v27, v27                                 // 000000006C70: 7E360F1B
	v_mul_lo_u32 v28, s56, v27                                 // 000000006C74: D285001C 00023638
	v_mul_hi_u32 v28, v27, v28                                 // 000000006C7C: D286001C 0002391B
	v_add_u32_e32 v27, v27, v28                                // 000000006C84: 6836391B
	v_mul_hi_u32 v27, s36, v27                                 // 000000006C88: D286001B 00023624
	v_mul_lo_u32 v28, v27, s37                                 // 000000006C90: D285001C 00004B1B
	v_sub_u32_e32 v30, s36, v28                                // 000000006C98: 6A3C3824
	v_add_u32_e32 v29, 1, v27                                  // 000000006C9C: 683A3681
	v_cmp_le_u32_e32 vcc, s37, v30                             // 000000006CA0: 7D963C25
	v_subrev_u32_e32 v28, s37, v30                             // 000000006CA4: 6C383C25
	s_nop 0                                                    // 000000006CA8: BF800000
	v_cndmask_b32_e32 v27, v27, v29, vcc                       // 000000006CAC: 00363B1B
	v_cndmask_b32_e32 v30, v30, v28, vcc                       // 000000006CB0: 003C391E
	v_add_u32_e32 v28, 1, v27                                  // 000000006CB4: 68383681
	v_cmp_le_u32_e32 vcc, s37, v30                             // 000000006CB8: 7D963C25
	s_nop 1                                                    // 000000006CBC: BF800001
	v_cndmask_b32_e32 v30, v27, v28, vcc                       // 000000006CC0: 003C391B
	s_nop 3                                                    // 000000006CC4: BF800003
	v_readfirstlane_b32 s38, v30                               // 000000006CC8: 7E4C051E
	s_nop 3                                                    // 000000006CCC: BF800003
	s_mul_i32 s56, s38, 3                                      // 000000006CD0: 92388326
	s_sub_u32 s56, s71, s56                                    // 000000006CD4: 80B83847
	s_cmp_eq_i32 s56, 1                                        // 000000006CD8: BF008138
	s_cbranch_scc1 label_5D90                                  // 000000006CDC: BF85052C
	s_cmp_eq_i32 s56, 0                                        // 000000006CE0: BF008038
	s_cbranch_scc1 label_533C                                  // 000000006CE4: BF850295
	s_waitcnt lgkmcnt(4)                                       // 000000006CE8: BF8CC47F
	v_mfma_f32_16x16x128_f8f6f4 v[36:39], a[40:47], a[0:7], 0  // 000000006CEC: D3AD0024 1A020128
	ds_read_b128 a[40:43], v20 offset:18432                    // 000000006CF4: DBFE4800 28000014
	v_mfma_f32_16x16x128_f8f6f4 v[36:39], a[48:55], a[8:15], v[36:39]// 000000006CFC: D3AD0024 1C921130
	ds_read_b128 a[44:47], v20 offset:19456                    // 000000006D04: DBFE4C00 2C000014
	v_mfma_f32_16x16x128_f8f6f4 v[36:39], a[56:63], a[16:23], v[36:39]// 000000006D0C: D3AD0024 1C922138
	ds_read_b128 a[48:51], v20 offset:20480                    // 000000006D14: DBFE5000 30000014
	v_mfma_f32_16x16x128_f8f6f4 v[36:39], a[64:71], a[24:31], v[36:39]// 000000006D1C: D3AD0024 1C923140
	ds_read_b128 a[52:55], v20 offset:21504                    // 000000006D24: DBFE5400 34000014
	v_mfma_f32_16x16x128_f8f6f4 v[36:39], a[72:79], a[32:39], v[36:39]// 000000006D2C: D3AD0024 1C924148
	ds_read_b128 a[56:59], v20 offset:22528                    // 000000006D34: DBFE5800 38000014
	v_mfma_f32_16x16x128_f8f6f4 v[40:43], a[80:87], a[0:7], 0  // 000000006D3C: D3AD0028 1A020150
	ds_read_b128 a[60:63], v20 offset:23552                    // 000000006D44: DBFE5C00 3C000014
	v_mfma_f32_16x16x128_f8f6f4 v[40:43], a[88:95], a[8:15], v[40:43]// 000000006D4C: D3AD0028 1CA21158
	ds_read_b128 a[64:67], v20 offset:24576                    // 000000006D54: DBFE6000 40000014
	v_mfma_f32_16x16x128_f8f6f4 v[40:43], a[96:103], a[16:23], v[40:43]// 000000006D5C: D3AD0028 1CA22160
	ds_read_b128 a[68:71], v20 offset:25600                    // 000000006D64: DBFE6400 44000014
	v_mfma_f32_16x16x128_f8f6f4 v[40:43], a[104:111], a[24:31], v[40:43]// 000000006D6C: D3AD0028 1CA23168
	ds_read_b128 a[72:75], v20 offset:26624                    // 000000006D74: DBFE6800 48000014
	v_mfma_f32_16x16x128_f8f6f4 v[40:43], a[112:119], a[32:39], v[40:43]// 000000006D7C: D3AD0028 1CA24170
	ds_read_b128 a[80:83], v20 offset:27648                    // 000000006D84: DBFE6C00 50000014
	ds_read_b128 a[84:87], v20 offset:28672                    // 000000006D8C: DBFE7000 54000014
	ds_read_b128 a[88:91], v20 offset:29696                    // 000000006D94: DBFE7400 58000014
	ds_read_b128 a[92:95], v20 offset:30720                    // 000000006D9C: DBFE7800 5C000014
	ds_read_b128 a[96:99], v20 offset:31744                    // 000000006DA4: DBFE7C00 60000014
	ds_read_b128 a[100:103], v20 offset:32768                  // 000000006DAC: DBFE8000 64000014
	ds_read_b128 a[104:107], v20 offset:33792                  // 000000006DB4: DBFE8400 68000014
	ds_read_b128 a[108:111], v20 offset:34816                  // 000000006DBC: DBFE8800 6C000014
	ds_read_b128 a[112:115], v20 offset:35840                  // 000000006DC4: DBFE8C00 70000014
	s_waitcnt lgkmcnt(4)                                       // 000000006DCC: BF8CC47F
	v_mfma_f32_16x16x128_f8f6f4 v[44:47], a[40:47], a[0:7], 0  // 000000006DD0: D3AD002C 1A020128
	ds_read_b64_tr_b8 a[120:121], v6                           // 000000006DD8: DBC40000 78000006
	ds_read_b64_tr_b8 a[122:123], v7                           // 000000006DE0: DBC40000 7A000007
	ds_read_b64_tr_b8 a[124:125], v6 offset:18432              // 000000006DE8: DBC44800 7C000006
	ds_read_b64_tr_b8 a[126:127], v7 offset:18432              // 000000006DF0: DBC44800 7E000007
	v_mfma_f32_16x16x128_f8f6f4 v[44:47], a[48:55], a[8:15], v[44:47]// 000000006DF8: D3AD002C 1CB21130
	ds_read_b64_tr_b8 a[128:129], v8                           // 000000006E00: DBC40000 80000008
	ds_read_b64_tr_b8 a[130:131], v9                           // 000000006E08: DBC40000 82000009
	ds_read_b64_tr_b8 a[132:133], v8 offset:18432              // 000000006E10: DBC44800 84000008
	ds_read_b64_tr_b8 a[134:135], v9 offset:18432              // 000000006E18: DBC44800 86000009
	v_mfma_f32_16x16x128_f8f6f4 v[44:47], a[56:63], a[16:23], v[44:47]// 000000006E20: D3AD002C 1CB22138
	ds_read_b64_tr_b8 a[136:137], v6 offset:1024               // 000000006E28: DBC40400 88000006
	ds_read_b64_tr_b8 a[138:139], v7 offset:1024               // 000000006E30: DBC40400 8A000007
	ds_read_b64_tr_b8 a[140:141], v6 offset:19456              // 000000006E38: DBC44C00 8C000006
	ds_read_b64_tr_b8 a[142:143], v7 offset:19456              // 000000006E40: DBC44C00 8E000007
	v_mfma_f32_16x16x128_f8f6f4 v[44:47], a[64:71], a[24:31], v[44:47]// 000000006E48: D3AD002C 1CB23140
	ds_read_b64_tr_b8 a[144:145], v8 offset:1024               // 000000006E50: DBC40400 90000008
	ds_read_b64_tr_b8 a[146:147], v9 offset:1024               // 000000006E58: DBC40400 92000009
	ds_read_b64_tr_b8 a[148:149], v8 offset:19456              // 000000006E60: DBC44C00 94000008
	ds_read_b64_tr_b8 a[150:151], v9 offset:19456              // 000000006E68: DBC44C00 96000009
	v_mfma_f32_16x16x128_f8f6f4 v[44:47], a[72:79], a[32:39], v[44:47]// 000000006E70: D3AD002C 1CB24148
	ds_read_b64_tr_b8 a[152:153], v6 offset:2048               // 000000006E78: DBC40800 98000006
	ds_read_b64_tr_b8 a[154:155], v7 offset:2048               // 000000006E80: DBC40800 9A000007
	ds_read_b64_tr_b8 a[156:157], v6 offset:20480              // 000000006E88: DBC45000 9C000006
	ds_read_b64_tr_b8 a[158:159], v7 offset:20480              // 000000006E90: DBC45000 9E000007
	v_mfma_f32_16x16x128_f8f6f4 v[48:51], a[80:87], a[0:7], 0  // 000000006E98: D3AD0030 1A020150
	ds_read_b64_tr_b8 a[160:161], v8 offset:2048               // 000000006EA0: DBC40800 A0000008
	ds_read_b64_tr_b8 a[162:163], v9 offset:2048               // 000000006EA8: DBC40800 A2000009
	ds_read_b64_tr_b8 a[164:165], v8 offset:20480              // 000000006EB0: DBC45000 A4000008
	ds_read_b64_tr_b8 a[166:167], v9 offset:20480              // 000000006EB8: DBC45000 A6000009
	v_mfma_f32_16x16x128_f8f6f4 v[48:51], a[88:95], a[8:15], v[48:51]// 000000006EC0: D3AD0030 1CC21158
	ds_read_b64_tr_b8 a[168:169], v6 offset:3072               // 000000006EC8: DBC40C00 A8000006
	ds_read_b64_tr_b8 a[170:171], v7 offset:3072               // 000000006ED0: DBC40C00 AA000007
	ds_read_b64_tr_b8 a[172:173], v6 offset:21504              // 000000006ED8: DBC45400 AC000006
	ds_read_b64_tr_b8 a[174:175], v7 offset:21504              // 000000006EE0: DBC45400 AE000007
	v_mfma_f32_16x16x128_f8f6f4 v[48:51], a[96:103], a[16:23], v[48:51]// 000000006EE8: D3AD0030 1CC22160
	ds_read_b64_tr_b8 a[176:177], v8 offset:3072               // 000000006EF0: DBC40C00 B0000008
	ds_read_b64_tr_b8 a[178:179], v9 offset:3072               // 000000006EF8: DBC40C00 B2000009
	ds_read_b64_tr_b8 a[180:181], v8 offset:21504              // 000000006F00: DBC45400 B4000008
	ds_read_b64_tr_b8 a[182:183], v9 offset:21504              // 000000006F08: DBC45400 B6000009
	v_mfma_f32_16x16x128_f8f6f4 v[48:51], a[104:111], a[24:31], v[48:51]// 000000006F10: D3AD0030 1CC23168
	v_mfma_f32_16x16x128_f8f6f4 v[48:51], a[112:119], a[32:39], v[48:51]// 000000006F18: D3AD0030 1CC24170
	s_nop 8                                                    // 000000006F20: BF800008
	s_and_b32 s56, s48, 0xff                                   // 000000006F24: 8638FF30 000000FF
	v_mov_b32_e32 v28, s56                                     // 000000006F2C: 7E380238
	v_lshrrev_b32_e32 v20, 4, v0                               // 000000006F30: 20280084
	v_mul_i32_i24_e32 v20, 4, v20                              // 000000006F34: 0C282884
	v_add_u32_e32 v21, 1, v20                                  // 000000006F38: 682A2881
	v_add_u32_e32 v22, 2, v20                                  // 000000006F3C: 682C2882
	v_add_u32_e32 v23, 3, v20                                  // 000000006F40: 682E2883
	v_mov_b32_e32 v27, 0xff800000                              // 000000006F44: 7E3602FF FF800000
	v_cmp_lt_u32_e64 s[36:37], v20, v28                        // 000000006F4C: D0C90024 00023914
	v_add_u32_e32 v20, 16, v20                                 // 000000006F54: 68282890
	s_nop 0                                                    // 000000006F58: BF800000
	v_cndmask_b32_e64 v36, v27, v36, s[36:37]                  // 000000006F5C: D1000024 0092491B
	v_cmp_lt_u32_e64 s[36:37], v21, v28                        // 000000006F64: D0C90024 00023915
	v_add_u32_e32 v21, 16, v21                                 // 000000006F6C: 682A2A90
	s_nop 0                                                    // 000000006F70: BF800000
	v_cndmask_b32_e64 v37, v27, v37, s[36:37]                  // 000000006F74: D1000025 00924B1B
	v_cmp_lt_u32_e64 s[36:37], v22, v28                        // 000000006F7C: D0C90024 00023916
	v_add_u32_e32 v22, 16, v22                                 // 000000006F84: 682C2C90
	s_nop 0                                                    // 000000006F88: BF800000
	v_cndmask_b32_e64 v38, v27, v38, s[36:37]                  // 000000006F8C: D1000026 00924D1B
	v_cmp_lt_u32_e64 s[36:37], v23, v28                        // 000000006F94: D0C90024 00023917
	v_add_u32_e32 v23, 16, v23                                 // 000000006F9C: 682E2E90
	s_nop 0                                                    // 000000006FA0: BF800000
	v_cndmask_b32_e64 v39, v27, v39, s[36:37]                  // 000000006FA4: D1000027 00924F1B
	v_cmp_lt_u32_e64 s[36:37], v20, v28                        // 000000006FAC: D0C90024 00023914
	v_add_u32_e32 v20, 16, v20                                 // 000000006FB4: 68282890
	s_nop 0                                                    // 000000006FB8: BF800000
	v_cndmask_b32_e64 v40, v27, v40, s[36:37]                  // 000000006FBC: D1000028 0092511B
	v_cmp_lt_u32_e64 s[36:37], v21, v28                        // 000000006FC4: D0C90024 00023915
	v_add_u32_e32 v21, 16, v21                                 // 000000006FCC: 682A2A90
	s_nop 0                                                    // 000000006FD0: BF800000
	v_cndmask_b32_e64 v41, v27, v41, s[36:37]                  // 000000006FD4: D1000029 0092531B
	v_cmp_lt_u32_e64 s[36:37], v22, v28                        // 000000006FDC: D0C90024 00023916
	v_add_u32_e32 v22, 16, v22                                 // 000000006FE4: 682C2C90
	s_nop 0                                                    // 000000006FE8: BF800000
	v_cndmask_b32_e64 v42, v27, v42, s[36:37]                  // 000000006FEC: D100002A 0092551B
	v_cmp_lt_u32_e64 s[36:37], v23, v28                        // 000000006FF4: D0C90024 00023917
	v_add_u32_e32 v23, 16, v23                                 // 000000006FFC: 682E2E90
	s_nop 0                                                    // 000000007000: BF800000
	v_cndmask_b32_e64 v43, v27, v43, s[36:37]                  // 000000007004: D100002B 0092571B
	v_cmp_lt_u32_e64 s[36:37], v20, v28                        // 00000000700C: D0C90024 00023914
	v_add_u32_e32 v20, 16, v20                                 // 000000007014: 68282890
	s_nop 0                                                    // 000000007018: BF800000
	v_cndmask_b32_e64 v44, v27, v44, s[36:37]                  // 00000000701C: D100002C 0092591B
	v_cmp_lt_u32_e64 s[36:37], v21, v28                        // 000000007024: D0C90024 00023915
	v_add_u32_e32 v21, 16, v21                                 // 00000000702C: 682A2A90
	s_nop 0                                                    // 000000007030: BF800000
	v_cndmask_b32_e64 v45, v27, v45, s[36:37]                  // 000000007034: D100002D 00925B1B
	v_cmp_lt_u32_e64 s[36:37], v22, v28                        // 00000000703C: D0C90024 00023916
	v_add_u32_e32 v22, 16, v22                                 // 000000007044: 682C2C90
	s_nop 0                                                    // 000000007048: BF800000
	v_cndmask_b32_e64 v46, v27, v46, s[36:37]                  // 00000000704C: D100002E 00925D1B
	v_cmp_lt_u32_e64 s[36:37], v23, v28                        // 000000007054: D0C90024 00023917
	v_add_u32_e32 v23, 16, v23                                 // 00000000705C: 682E2E90
	s_nop 0                                                    // 000000007060: BF800000
	v_cndmask_b32_e64 v47, v27, v47, s[36:37]                  // 000000007064: D100002F 00925F1B
	v_cmp_lt_u32_e64 s[36:37], v20, v28                        // 00000000706C: D0C90024 00023914
	v_add_u32_e32 v20, 16, v20                                 // 000000007074: 68282890
	s_nop 0                                                    // 000000007078: BF800000
	v_cndmask_b32_e64 v48, v27, v48, s[36:37]                  // 00000000707C: D1000030 0092611B
	v_cmp_lt_u32_e64 s[36:37], v21, v28                        // 000000007084: D0C90024 00023915
	v_add_u32_e32 v21, 16, v21                                 // 00000000708C: 682A2A90
	s_nop 0                                                    // 000000007090: BF800000
	v_cndmask_b32_e64 v49, v27, v49, s[36:37]                  // 000000007094: D1000031 0092631B
	v_cmp_lt_u32_e64 s[36:37], v22, v28                        // 00000000709C: D0C90024 00023916
	v_add_u32_e32 v22, 16, v22                                 // 0000000070A4: 682C2C90
	s_nop 0                                                    // 0000000070A8: BF800000
	v_cndmask_b32_e64 v50, v27, v50, s[36:37]                  // 0000000070AC: D1000032 0092651B
	v_cmp_lt_u32_e64 s[36:37], v23, v28                        // 0000000070B4: D0C90024 00023917
	v_add_u32_e32 v23, 16, v23                                 // 0000000070BC: 682E2E90
	s_nop 0                                                    // 0000000070C0: BF800000
	v_cndmask_b32_e64 v51, v27, v51, s[36:37]                  // 0000000070C4: D1000033 0092671B
	s_cmp_le_i32 s83, s82                                      // 0000000070CC: BF055253
	s_cbranch_scc1 label_4E80                                  // 0000000070D0: BF85006B
	v_mov_b32_e32 v27, s82                                     // 0000000070D4: 7E360252
	v_add_u32_e32 v27, s7, v27                                 // 0000000070D8: 68363607
	s_sub_u32 s56, s83, 63                                     // 0000000070DC: 80B8BF53
	v_lshrrev_b32_e32 v20, 4, v0                               // 0000000070E0: 20280084
	v_mul_i32_i24_e32 v20, 4, v20                              // 0000000070E4: 0C282884
	v_add_u32_e32 v20, s56, v20                                // 0000000070E8: 68282838
	v_add_u32_e32 v21, 1, v20                                  // 0000000070EC: 682A2881
	v_add_u32_e32 v22, 2, v20                                  // 0000000070F0: 682C2882
	v_add_u32_e32 v23, 3, v20                                  // 0000000070F4: 682E2883
	v_mov_b32_e32 v28, 0xff800000                              // 0000000070F8: 7E3802FF FF800000
	v_cmp_le_u32_e64 s[36:37], v20, v27                        // 000000007100: D0CB0024 00023714
	v_add_u32_e32 v20, 16, v20                                 // 000000007108: 68282890
	s_nop 0                                                    // 00000000710C: BF800000
	v_cndmask_b32_e64 v36, v28, v36, s[36:37]                  // 000000007110: D1000024 0092491C
	v_cmp_le_u32_e64 s[36:37], v21, v27                        // 000000007118: D0CB0024 00023715
	v_add_u32_e32 v21, 16, v21                                 // 000000007120: 682A2A90
	s_nop 0                                                    // 000000007124: BF800000
	v_cndmask_b32_e64 v37, v28, v37, s[36:37]                  // 000000007128: D1000025 00924B1C
	v_cmp_le_u32_e64 s[36:37], v22, v27                        // 000000007130: D0CB0024 00023716
	v_add_u32_e32 v22, 16, v22                                 // 000000007138: 682C2C90
	s_nop 0                                                    // 00000000713C: BF800000
	v_cndmask_b32_e64 v38, v28, v38, s[36:37]                  // 000000007140: D1000026 00924D1C
	v_cmp_le_u32_e64 s[36:37], v23, v27                        // 000000007148: D0CB0024 00023717
	v_add_u32_e32 v23, 16, v23                                 // 000000007150: 682E2E90
	s_nop 0                                                    // 000000007154: BF800000
	v_cndmask_b32_e64 v39, v28, v39, s[36:37]                  // 000000007158: D1000027 00924F1C
	v_cmp_le_u32_e64 s[36:37], v20, v27                        // 000000007160: D0CB0024 00023714
	v_add_u32_e32 v20, 16, v20                                 // 000000007168: 68282890
	s_nop 0                                                    // 00000000716C: BF800000
	v_cndmask_b32_e64 v40, v28, v40, s[36:37]                  // 000000007170: D1000028 0092511C
	v_cmp_le_u32_e64 s[36:37], v21, v27                        // 000000007178: D0CB0024 00023715
	v_add_u32_e32 v21, 16, v21                                 // 000000007180: 682A2A90
	s_nop 0                                                    // 000000007184: BF800000
	v_cndmask_b32_e64 v41, v28, v41, s[36:37]                  // 000000007188: D1000029 0092531C
	v_cmp_le_u32_e64 s[36:37], v22, v27                        // 000000007190: D0CB0024 00023716
	v_add_u32_e32 v22, 16, v22                                 // 000000007198: 682C2C90
	s_nop 0                                                    // 00000000719C: BF800000
	v_cndmask_b32_e64 v42, v28, v42, s[36:37]                  // 0000000071A0: D100002A 0092551C
	v_cmp_le_u32_e64 s[36:37], v23, v27                        // 0000000071A8: D0CB0024 00023717
	v_add_u32_e32 v23, 16, v23                                 // 0000000071B0: 682E2E90
	s_nop 0                                                    // 0000000071B4: BF800000
	v_cndmask_b32_e64 v43, v28, v43, s[36:37]                  // 0000000071B8: D100002B 0092571C
	v_cmp_le_u32_e64 s[36:37], v20, v27                        // 0000000071C0: D0CB0024 00023714
	v_add_u32_e32 v20, 16, v20                                 // 0000000071C8: 68282890
	s_nop 0                                                    // 0000000071CC: BF800000
	v_cndmask_b32_e64 v44, v28, v44, s[36:37]                  // 0000000071D0: D100002C 0092591C
	v_cmp_le_u32_e64 s[36:37], v21, v27                        // 0000000071D8: D0CB0024 00023715
	v_add_u32_e32 v21, 16, v21                                 // 0000000071E0: 682A2A90
	s_nop 0                                                    // 0000000071E4: BF800000
	v_cndmask_b32_e64 v45, v28, v45, s[36:37]                  // 0000000071E8: D100002D 00925B1C
	v_cmp_le_u32_e64 s[36:37], v22, v27                        // 0000000071F0: D0CB0024 00023716
	v_add_u32_e32 v22, 16, v22                                 // 0000000071F8: 682C2C90
	s_nop 0                                                    // 0000000071FC: BF800000
	v_cndmask_b32_e64 v46, v28, v46, s[36:37]                  // 000000007200: D100002E 00925D1C
	v_cmp_le_u32_e64 s[36:37], v23, v27                        // 000000007208: D0CB0024 00023717
	v_add_u32_e32 v23, 16, v23                                 // 000000007210: 682E2E90
	s_nop 0                                                    // 000000007214: BF800000
	v_cndmask_b32_e64 v47, v28, v47, s[36:37]                  // 000000007218: D100002F 00925F1C
	v_cmp_le_u32_e64 s[36:37], v20, v27                        // 000000007220: D0CB0024 00023714
	v_add_u32_e32 v20, 16, v20                                 // 000000007228: 68282890
	s_nop 0                                                    // 00000000722C: BF800000
	v_cndmask_b32_e64 v48, v28, v48, s[36:37]                  // 000000007230: D1000030 0092611C
	v_cmp_le_u32_e64 s[36:37], v21, v27                        // 000000007238: D0CB0024 00023715
	v_add_u32_e32 v21, 16, v21                                 // 000000007240: 682A2A90
	s_nop 0                                                    // 000000007244: BF800000
	v_cndmask_b32_e64 v49, v28, v49, s[36:37]                  // 000000007248: D1000031 0092631C
	v_cmp_le_u32_e64 s[36:37], v22, v27                        // 000000007250: D0CB0024 00023716
	v_add_u32_e32 v22, 16, v22                                 // 000000007258: 682C2C90
	s_nop 0                                                    // 00000000725C: BF800000
	v_cndmask_b32_e64 v50, v28, v50, s[36:37]                  // 000000007260: D1000032 0092651C
	v_cmp_le_u32_e64 s[36:37], v23, v27                        // 000000007268: D0CB0024 00023717
	v_add_u32_e32 v23, 16, v23                                 // 000000007270: 682E2E90
	s_nop 0                                                    // 000000007274: BF800000
	v_cndmask_b32_e64 v51, v28, v51, s[36:37]                  // 000000007278: D1000033 0092671C

0000000000007280 <label_4E80>:
	s_add_u32 s83, s84, s83                                    // 000000007280: 80535354
	s_nop 2                                                    // 000000007284: BF800002
	v_mov_b32_e32 v28, v36                                     // 000000007288: 7E380324
	v_max3_f32 v28, v36, v37, v28                              // 00000000728C: D1D3001C 04724B24
	v_max3_f32 v28, v38, v39, v28                              // 000000007294: D1D3001C 04724F26
	v_max3_f32 v28, v40, v41, v28                              // 00000000729C: D1D3001C 04725328
	v_max3_f32 v28, v42, v43, v28                              // 0000000072A4: D1D3001C 0472572A
	v_max3_f32 v28, v44, v45, v28                              // 0000000072AC: D1D3001C 04725B2C
	v_max3_f32 v28, v46, v47, v28                              // 0000000072B4: D1D3001C 04725F2E
	v_max3_f32 v28, v48, v49, v28                              // 0000000072BC: D1D3001C 04726330
	v_max3_f32 v28, v50, v51, v28                              // 0000000072C4: D1D3001C 04726732
	v_mov_b32_e32 v27, v28                                     // 0000000072CC: 7E36031C
	v_mov_b32_e32 v28, v28                                     // 0000000072D0: 7E38031C
	s_nop 1                                                    // 0000000072D4: BF800001
	v_permlane16_swap_b32_e32 v27, v28                         // 0000000072D8: 7E36B31C
	v_mov_b32_e32 v30, v27                                     // 0000000072DC: 7E3C031B
	v_mov_b32_e32 v29, v28                                     // 0000000072E0: 7E3A031C
	s_nop 1                                                    // 0000000072E4: BF800001
	v_permlane32_swap_b32_e32 v27, v28                         // 0000000072E8: 7E36B51C
	v_permlane32_swap_b32_e32 v29, v30                         // 0000000072EC: 7E3AB51E
	v_max3_f32 v28, v27, v28, v28                              // 0000000072F0: D1D3001C 0472391B
	v_max3_f32 v28, v29, v30, v28                              // 0000000072F8: D1D3001C 04723D1D
	v_mov_b32_e32 v27, 0xff800000                              // 000000007300: 7E3602FF FF800000
	v_cmp_eq_u32_e64 s[36:37], v27, v2                         // 000000007308: D0CA0024 0002051B
	v_max_f32_e32 v28, v28, v2                                 // 000000007310: 1638051C
	v_sub_f32_e32 v18, v2, v28                                 // 000000007314: 04243902
	v_cndmask_b32_e64 v18, v18, 0, s[36:37]                    // 000000007318: D1000012 00910112
	v_mov_b32_e32 v2, v28                                      // 000000007320: 7E04031C
	v_mul_f32_e32 v28, s5, v28                                 // 000000007324: 0A383805
	v_mul_f32_e32 v18, s5, v18                                 // 000000007328: 0A242405
	v_exp_f32_e32 v18, v18                                     // 00000000732C: 7E244112
	v_fma_f32 v36, v36, s5, -v28                               // 000000007330: D1CB0024 84700B24
	v_fma_f32 v37, v37, s5, -v28                               // 000000007338: D1CB0025 84700B25
	v_fma_f32 v38, v38, s5, -v28                               // 000000007340: D1CB0026 84700B26
	v_fma_f32 v39, v39, s5, -v28                               // 000000007348: D1CB0027 84700B27
	v_fma_f32 v40, v40, s5, -v28                               // 000000007350: D1CB0028 84700B28
	v_fma_f32 v41, v41, s5, -v28                               // 000000007358: D1CB0029 84700B29
	v_fma_f32 v42, v42, s5, -v28                               // 000000007360: D1CB002A 84700B2A
	v_fma_f32 v43, v43, s5, -v28                               // 000000007368: D1CB002B 84700B2B
	v_fma_f32 v44, v44, s5, -v28                               // 000000007370: D1CB002C 84700B2C
	v_fma_f32 v45, v45, s5, -v28                               // 000000007378: D1CB002D 84700B2D
	v_fma_f32 v46, v46, s5, -v28                               // 000000007380: D1CB002E 84700B2E
	v_fma_f32 v47, v47, s5, -v28                               // 000000007388: D1CB002F 84700B2F
	v_fma_f32 v48, v48, s5, -v28                               // 000000007390: D1CB0030 84700B30
	v_fma_f32 v49, v49, s5, -v28                               // 000000007398: D1CB0031 84700B31
	v_fma_f32 v50, v50, s5, -v28                               // 0000000073A0: D1CB0032 84700B32
	v_fma_f32 v51, v51, s5, -v28                               // 0000000073A8: D1CB0033 84700B33
	v_exp_f32_e32 v36, v36                                     // 0000000073B0: 7E484124
	v_exp_f32_e32 v37, v37                                     // 0000000073B4: 7E4A4125
	v_exp_f32_e32 v38, v38                                     // 0000000073B8: 7E4C4126
	v_exp_f32_e32 v39, v39                                     // 0000000073BC: 7E4E4127
	v_exp_f32_e32 v40, v40                                     // 0000000073C0: 7E504128
	v_exp_f32_e32 v41, v41                                     // 0000000073C4: 7E524129
	v_exp_f32_e32 v42, v42                                     // 0000000073C8: 7E54412A
	v_exp_f32_e32 v43, v43                                     // 0000000073CC: 7E56412B
	v_exp_f32_e32 v44, v44                                     // 0000000073D0: 7E58412C
	v_exp_f32_e32 v45, v45                                     // 0000000073D4: 7E5A412D
	v_exp_f32_e32 v46, v46                                     // 0000000073D8: 7E5C412E
	v_exp_f32_e32 v47, v47                                     // 0000000073DC: 7E5E412F
	v_exp_f32_e32 v48, v48                                     // 0000000073E0: 7E604130
	v_exp_f32_e32 v49, v49                                     // 0000000073E4: 7E624131
	v_exp_f32_e32 v50, v50                                     // 0000000073E8: 7E644132
	v_exp_f32_e32 v51, v51                                     // 0000000073EC: 7E664133
	v_mul_f32_e32 v4, v18, v4                                  // 0000000073F0: 0A080912
	v_mov_b32_e32 v27, v36                                     // 0000000073F4: 7E360324
	v_add_f32_e32 v27, v37, v27                                // 0000000073F8: 02363725
	v_add_f32_e32 v27, v38, v27                                // 0000000073FC: 02363726
	v_add_f32_e32 v27, v39, v27                                // 000000007400: 02363727
	v_add_f32_e32 v27, v40, v27                                // 000000007404: 02363728
	;; [unrolled: 1-line block ×3, first 2 shown]
	v_add_f32_e32 v27, v42, v27                                // 00000000740C: 0236372A
	v_add_f32_e32 v27, v43, v27                                // 000000007410: 0236372B
	v_add_f32_e32 v27, v44, v27                                // 000000007414: 0236372C
	v_add_f32_e32 v27, v45, v27                                // 000000007418: 0236372D
	v_add_f32_e32 v27, v46, v27                                // 00000000741C: 0236372E
	v_add_f32_e32 v27, v47, v27                                // 000000007420: 0236372F
	v_add_f32_e32 v27, v48, v27                                // 000000007424: 02363730
	v_add_f32_e32 v27, v49, v27                                // 000000007428: 02363731
	v_add_f32_e32 v27, v50, v27                                // 00000000742C: 02363732
	v_add_f32_e32 v27, v51, v27                                // 000000007430: 02363733
	v_add_f32_e32 v4, v27, v4                                  // 000000007434: 0208091B
	v_cvt_pk_fp8_f32 v36, v36, v37                             // 000000007438: D2A20024 00024B24
	v_cvt_pk_fp8_f32 v36, v38, v39 op_sel:[0,0,1]              // 000000007440: D2A24024 00024F26
	v_cvt_pk_fp8_f32 v37, v40, v41                             // 000000007448: D2A20025 00025328
	v_cvt_pk_fp8_f32 v37, v42, v43 op_sel:[0,0,1]              // 000000007450: D2A24025 0002572A
	v_cvt_pk_fp8_f32 v38, v44, v45                             // 000000007458: D2A20026 00025B2C
	v_cvt_pk_fp8_f32 v38, v46, v47 op_sel:[0,0,1]              // 000000007460: D2A24026 00025F2E
	v_cvt_pk_fp8_f32 v39, v48, v49                             // 000000007468: D2A20027 00026330
	v_cvt_pk_fp8_f32 v39, v50, v51 op_sel:[0,0,1]              // 000000007470: D2A24027 00026732
	s_nop 0                                                    // 000000007478: BF800000
	v_permlane16_swap_b32_e32 v36, v37                         // 00000000747C: 7E48B325
	v_permlane16_swap_b32_e32 v38, v39                         // 000000007480: 7E4CB327
	s_nop 0                                                    // 000000007484: BF800000
	v_permlane32_swap_b32_e32 v36, v38                         // 000000007488: 7E48B526
	v_permlane32_swap_b32_e32 v37, v39                         // 00000000748C: 7E4AB527
	ds_write_b128 v32, v[36:39]                                // 000000007490: D9BE0000 00002420
	s_waitcnt lgkmcnt(0)                                       // 000000007498: BF8CC07F
	s_barrier                                                  // 00000000749C: BF8A0000
	ds_read_b128 v[36:39], v33                                 // 0000000074A0: D9FE0000 24000021
	ds_read_b128 v[40:43], v33 offset:1024                     // 0000000074A8: D9FE0400 28000021
	s_waitcnt lgkmcnt(0)                                       // 0000000074B0: BF8CC07F
	v_permlane16_swap_b32_e32 v36, v40                         // 0000000074B4: 7E48B328
	v_permlane16_swap_b32_e32 v37, v41                         // 0000000074B8: 7E4AB329
	v_permlane16_swap_b32_e32 v38, v42                         // 0000000074BC: 7E4CB32A
	v_permlane16_swap_b32_e32 v39, v43                         // 0000000074C0: 7E4EB32B
	v_permlane32_swap_b32_e32 v36, v40                         // 0000000074C4: 7E48B528
	v_permlane32_swap_b32_e32 v37, v41                         // 0000000074C8: 7E4AB529
	v_permlane32_swap_b32_e32 v38, v42                         // 0000000074CC: 7E4CB52A
	v_permlane32_swap_b32_e32 v39, v43                         // 0000000074D0: 7E4EB52B
	ds_write_b32 v34, v18                                      // 0000000074D4: D81A0000 00001222
	s_waitcnt lgkmcnt(0)                                       // 0000000074DC: BF8CC07F
	s_barrier                                                  // 0000000074E0: BF8A0000
	ds_read_b32 v27, v35                                       // 0000000074E4: D86C0000 1B000023
	s_waitcnt lgkmcnt(0)                                       // 0000000074EC: BF8CC07F
	v_mul_f32_e32 v52, v27, v52                                // 0000000074F0: 0A68691B
	v_mul_f32_e32 v53, v27, v53                                // 0000000074F4: 0A6A6B1B
	v_mul_f32_e32 v54, v27, v54                                // 0000000074F8: 0A6C6D1B
	v_mul_f32_e32 v55, v27, v55                                // 0000000074FC: 0A6E6F1B
	v_mul_f32_e32 v56, v27, v56                                // 000000007500: 0A70711B
	v_mul_f32_e32 v57, v27, v57                                // 000000007504: 0A72731B
	v_mul_f32_e32 v58, v27, v58                                // 000000007508: 0A74751B
	v_mul_f32_e32 v59, v27, v59                                // 00000000750C: 0A76771B
	v_mul_f32_e32 v60, v27, v60                                // 000000007510: 0A78791B
	v_mul_f32_e32 v61, v27, v61                                // 000000007514: 0A7A7B1B
	v_mul_f32_e32 v62, v27, v62                                // 000000007518: 0A7C7D1B
	v_mul_f32_e32 v63, v27, v63                                // 00000000751C: 0A7E7F1B
	v_mul_f32_e32 v64, v27, v64                                // 000000007520: 0A80811B
	v_mul_f32_e32 v65, v27, v65                                // 000000007524: 0A82831B
	v_mul_f32_e32 v66, v27, v66                                // 000000007528: 0A84851B
	v_mul_f32_e32 v67, v27, v67                                // 00000000752C: 0A86871B
	v_mul_f32_e32 v68, v27, v68                                // 000000007530: 0A88891B
	v_mul_f32_e32 v69, v27, v69                                // 000000007534: 0A8A8B1B
	v_mul_f32_e32 v70, v27, v70                                // 000000007538: 0A8C8D1B
	v_mul_f32_e32 v71, v27, v71                                // 00000000753C: 0A8E8F1B
	v_mul_f32_e32 v72, v27, v72                                // 000000007540: 0A90911B
	v_mul_f32_e32 v73, v27, v73                                // 000000007544: 0A92931B
	v_mul_f32_e32 v74, v27, v74                                // 000000007548: 0A94951B
	v_mul_f32_e32 v75, v27, v75                                // 00000000754C: 0A96971B
	v_mul_f32_e32 v76, v27, v76                                // 000000007550: 0A98991B
	v_mul_f32_e32 v77, v27, v77                                // 000000007554: 0A9A9B1B
	v_mul_f32_e32 v78, v27, v78                                // 000000007558: 0A9C9D1B
	v_mul_f32_e32 v79, v27, v79                                // 00000000755C: 0A9E9F1B
	v_mul_f32_e32 v80, v27, v80                                // 000000007560: 0AA0A11B
	v_mul_f32_e32 v81, v27, v81                                // 000000007564: 0AA2A31B
	v_mul_f32_e32 v82, v27, v82                                // 000000007568: 0AA4A51B
	v_mul_f32_e32 v83, v27, v83                                // 00000000756C: 0AA6A71B
	v_mul_f32_e32 v84, v27, v84                                // 000000007570: 0AA8A91B
	v_mul_f32_e32 v85, v27, v85                                // 000000007574: 0AAAAB1B
	v_mul_f32_e32 v86, v27, v86                                // 000000007578: 0AACAD1B
	v_mul_f32_e32 v87, v27, v87                                // 00000000757C: 0AAEAF1B
	v_mul_f32_e32 v88, v27, v88                                // 000000007580: 0AB0B11B
	v_mul_f32_e32 v89, v27, v89                                // 000000007584: 0AB2B31B
	v_mul_f32_e32 v90, v27, v90                                // 000000007588: 0AB4B51B
	v_mul_f32_e32 v91, v27, v91                                // 00000000758C: 0AB6B71B
	v_mul_f32_e32 v92, v27, v92                                // 000000007590: 0AB8B91B
	v_mul_f32_e32 v93, v27, v93                                // 000000007594: 0ABABB1B
	v_mul_f32_e32 v94, v27, v94                                // 000000007598: 0ABCBD1B
	v_mul_f32_e32 v95, v27, v95                                // 00000000759C: 0ABEBF1B
	v_mul_f32_e32 v96, v27, v96                                // 0000000075A0: 0AC0C11B
	v_mul_f32_e32 v97, v27, v97                                // 0000000075A4: 0AC2C31B
	v_mul_f32_e32 v98, v27, v98                                // 0000000075A8: 0AC4C51B
	v_mul_f32_e32 v99, v27, v99                                // 0000000075AC: 0AC6C71B
	v_mul_f32_e32 v100, v27, v100                              // 0000000075B0: 0AC8C91B
	v_mul_f32_e32 v101, v27, v101                              // 0000000075B4: 0ACACB1B
	v_mul_f32_e32 v102, v27, v102                              // 0000000075B8: 0ACCCD1B
	v_mul_f32_e32 v103, v27, v103                              // 0000000075BC: 0ACECF1B
	v_mul_f32_e32 v104, v27, v104                              // 0000000075C0: 0AD0D11B
	v_mul_f32_e32 v105, v27, v105                              // 0000000075C4: 0AD2D31B
	v_mul_f32_e32 v106, v27, v106                              // 0000000075C8: 0AD4D51B
	v_mul_f32_e32 v107, v27, v107                              // 0000000075CC: 0AD6D71B
	v_mul_f32_e32 v108, v27, v108                              // 0000000075D0: 0AD8D91B
	v_mul_f32_e32 v109, v27, v109                              // 0000000075D4: 0ADADB1B
	v_mul_f32_e32 v110, v27, v110                              // 0000000075D8: 0ADCDD1B
	v_mul_f32_e32 v111, v27, v111                              // 0000000075DC: 0ADEDF1B
	v_mul_f32_e32 v112, v27, v112                              // 0000000075E0: 0AE0E11B
	v_mul_f32_e32 v113, v27, v113                              // 0000000075E4: 0AE2E31B
	v_mul_f32_e32 v114, v27, v114                              // 0000000075E8: 0AE4E51B
	v_mul_f32_e32 v115, v27, v115                              // 0000000075EC: 0AE6E71B
	v_mul_f32_e32 v116, v27, v116                              // 0000000075F0: 0AE8E91B
	v_mul_f32_e32 v117, v27, v117                              // 0000000075F4: 0AEAEB1B
	v_mul_f32_e32 v118, v27, v118                              // 0000000075F8: 0AECED1B
	v_mul_f32_e32 v119, v27, v119                              // 0000000075FC: 0AEEEF1B
	v_mul_f32_e32 v120, v27, v120                              // 000000007600: 0AF0F11B
	v_mul_f32_e32 v121, v27, v121                              // 000000007604: 0AF2F31B
	v_mul_f32_e32 v122, v27, v122                              // 000000007608: 0AF4F51B
	v_mul_f32_e32 v123, v27, v123                              // 00000000760C: 0AF6F71B
	v_mul_f32_e32 v124, v27, v124                              // 000000007610: 0AF8F91B
	v_mul_f32_e32 v125, v27, v125                              // 000000007614: 0AFAFB1B
	v_mul_f32_e32 v126, v27, v126                              // 000000007618: 0AFCFD1B
	v_mul_f32_e32 v127, v27, v127                              // 00000000761C: 0AFEFF1B
	v_mul_f32_e32 v128, v27, v128                              // 000000007620: 0B01011B
	v_mul_f32_e32 v129, v27, v129                              // 000000007624: 0B03031B
	v_mul_f32_e32 v130, v27, v130                              // 000000007628: 0B05051B
	v_mul_f32_e32 v131, v27, v131                              // 00000000762C: 0B07071B
	v_mul_f32_e32 v132, v27, v132                              // 000000007630: 0B09091B
	v_mul_f32_e32 v133, v27, v133                              // 000000007634: 0B0B0B1B
	v_mul_f32_e32 v134, v27, v134                              // 000000007638: 0B0D0D1B
	v_mul_f32_e32 v135, v27, v135                              // 00000000763C: 0B0F0F1B
	v_mul_f32_e32 v136, v27, v136                              // 000000007640: 0B11111B
	v_mul_f32_e32 v137, v27, v137                              // 000000007644: 0B13131B
	v_mul_f32_e32 v138, v27, v138                              // 000000007648: 0B15151B
	v_mul_f32_e32 v139, v27, v139                              // 00000000764C: 0B17171B
	v_mul_f32_e32 v140, v27, v140                              // 000000007650: 0B19191B
	v_mul_f32_e32 v141, v27, v141                              // 000000007654: 0B1B1B1B
	v_mul_f32_e32 v142, v27, v142                              // 000000007658: 0B1D1D1B
	v_mul_f32_e32 v143, v27, v143                              // 00000000765C: 0B1F1F1B
	v_mul_f32_e32 v144, v27, v144                              // 000000007660: 0B21211B
	v_mul_f32_e32 v145, v27, v145                              // 000000007664: 0B23231B
	v_mul_f32_e32 v146, v27, v146                              // 000000007668: 0B25251B
	v_mul_f32_e32 v147, v27, v147                              // 00000000766C: 0B27271B
	v_mul_f32_e32 v148, v27, v148                              // 000000007670: 0B29291B
	v_mul_f32_e32 v149, v27, v149                              // 000000007674: 0B2B2B1B
	v_mul_f32_e32 v150, v27, v150                              // 000000007678: 0B2D2D1B
	v_mul_f32_e32 v151, v27, v151                              // 00000000767C: 0B2F2F1B
	v_mul_f32_e32 v152, v27, v152                              // 000000007680: 0B31311B
	v_mul_f32_e32 v153, v27, v153                              // 000000007684: 0B33331B
	v_mul_f32_e32 v154, v27, v154                              // 000000007688: 0B35351B
	v_mul_f32_e32 v155, v27, v155                              // 00000000768C: 0B37371B
	v_mul_f32_e32 v156, v27, v156                              // 000000007690: 0B39391B
	v_mul_f32_e32 v157, v27, v157                              // 000000007694: 0B3B3B1B
	v_mul_f32_e32 v158, v27, v158                              // 000000007698: 0B3D3D1B
	v_mul_f32_e32 v159, v27, v159                              // 00000000769C: 0B3F3F1B
	v_mul_f32_e32 v160, v27, v160                              // 0000000076A0: 0B41411B
	v_mul_f32_e32 v161, v27, v161                              // 0000000076A4: 0B43431B
	v_mul_f32_e32 v162, v27, v162                              // 0000000076A8: 0B45451B
	v_mul_f32_e32 v163, v27, v163                              // 0000000076AC: 0B47471B
	v_mul_f32_e32 v164, v27, v164                              // 0000000076B0: 0B49491B
	v_mul_f32_e32 v165, v27, v165                              // 0000000076B4: 0B4B4B1B
	v_mul_f32_e32 v166, v27, v166                              // 0000000076B8: 0B4D4D1B
	v_mul_f32_e32 v167, v27, v167                              // 0000000076BC: 0B4F4F1B
	v_mul_f32_e32 v168, v27, v168                              // 0000000076C0: 0B51511B
	v_mul_f32_e32 v169, v27, v169                              // 0000000076C4: 0B53531B
	v_mul_f32_e32 v170, v27, v170                              // 0000000076C8: 0B55551B
	v_mul_f32_e32 v171, v27, v171                              // 0000000076CC: 0B57571B
	v_mul_f32_e32 v172, v27, v172                              // 0000000076D0: 0B59591B
	v_mul_f32_e32 v173, v27, v173                              // 0000000076D4: 0B5B5B1B
	v_mul_f32_e32 v174, v27, v174                              // 0000000076D8: 0B5D5D1B
	v_mul_f32_e32 v175, v27, v175                              // 0000000076DC: 0B5F5F1B
	v_mul_f32_e32 v176, v27, v176                              // 0000000076E0: 0B61611B
	v_mul_f32_e32 v177, v27, v177                              // 0000000076E4: 0B63631B
	v_mul_f32_e32 v178, v27, v178                              // 0000000076E8: 0B65651B
	v_mul_f32_e32 v179, v27, v179                              // 0000000076EC: 0B67671B
	v_mfma_f32_32x32x64_f8f6f4 v[52:67], a[120:127], v[36:43], v[52:67]// 0000000076F0: D3AE0034 0CD24978
	v_mfma_f32_32x32x64_f8f6f4 v[68:83], a[128:135], v[36:43], v[68:83]// 0000000076F8: D3AE0044 0D124980
	v_mfma_f32_32x32x64_f8f6f4 v[84:99], a[136:143], v[36:43], v[84:99]// 000000007700: D3AE0054 0D524988
	v_mfma_f32_32x32x64_f8f6f4 v[100:115], a[144:151], v[36:43], v[100:115]// 000000007708: D3AE0064 0D924990
	v_mfma_f32_32x32x64_f8f6f4 v[116:131], a[152:159], v[36:43], v[116:131]// 000000007710: D3AE0074 0DD24998
	v_mfma_f32_32x32x64_f8f6f4 v[132:147], a[160:167], v[36:43], v[132:147]// 000000007718: D3AE0084 0E1249A0
	v_mfma_f32_32x32x64_f8f6f4 v[148:163], a[168:175], v[36:43], v[148:163]// 000000007720: D3AE0094 0E5249A8
	v_mfma_f32_32x32x64_f8f6f4 v[164:179], a[176:183], v[36:43], v[164:179]// 000000007728: D3AE00A4 0E9249B0
	s_waitcnt lgkmcnt(0)                                       // 000000007730: BF8CC07F
	s_nop 8                                                    // 000000007734: BF800008
	s_branch label_69EC                                        // 000000007738: BF82052A

000000000000773c <label_533C>:
	s_waitcnt lgkmcnt(4)                                       // 00000000773C: BF8CC47F
	v_mfma_f32_16x16x128_f8f6f4 v[36:39], a[40:47], a[0:7], 0  // 000000007740: D3AD0024 1A020128
	ds_read_b128 a[40:43], v21 offset:18432                    // 000000007748: DBFE4800 28000015
	v_mfma_f32_16x16x128_f8f6f4 v[36:39], a[48:55], a[8:15], v[36:39]// 000000007750: D3AD0024 1C921130
	ds_read_b128 a[44:47], v21 offset:19456                    // 000000007758: DBFE4C00 2C000015
	v_mfma_f32_16x16x128_f8f6f4 v[36:39], a[56:63], a[16:23], v[36:39]// 000000007760: D3AD0024 1C922138
	ds_read_b128 a[48:51], v21 offset:20480                    // 000000007768: DBFE5000 30000015
	v_mfma_f32_16x16x128_f8f6f4 v[36:39], a[64:71], a[24:31], v[36:39]// 000000007770: D3AD0024 1C923140
	ds_read_b128 a[52:55], v21 offset:21504                    // 000000007778: DBFE5400 34000015
	v_mfma_f32_16x16x128_f8f6f4 v[36:39], a[72:79], a[32:39], v[36:39]// 000000007780: D3AD0024 1C924148
	ds_read_b128 a[56:59], v21 offset:22528                    // 000000007788: DBFE5800 38000015
	v_mfma_f32_16x16x128_f8f6f4 v[40:43], a[80:87], a[0:7], 0  // 000000007790: D3AD0028 1A020150
	ds_read_b128 a[60:63], v21 offset:23552                    // 000000007798: DBFE5C00 3C000015
	v_mfma_f32_16x16x128_f8f6f4 v[40:43], a[88:95], a[8:15], v[40:43]// 0000000077A0: D3AD0028 1CA21158
	ds_read_b128 a[64:67], v21 offset:24576                    // 0000000077A8: DBFE6000 40000015
	v_mfma_f32_16x16x128_f8f6f4 v[40:43], a[96:103], a[16:23], v[40:43]// 0000000077B0: D3AD0028 1CA22160
	ds_read_b128 a[68:71], v21 offset:25600                    // 0000000077B8: DBFE6400 44000015
	v_mfma_f32_16x16x128_f8f6f4 v[40:43], a[104:111], a[24:31], v[40:43]// 0000000077C0: D3AD0028 1CA23168
	ds_read_b128 a[72:75], v21 offset:26624                    // 0000000077C8: DBFE6800 48000015
	v_mfma_f32_16x16x128_f8f6f4 v[40:43], a[112:119], a[32:39], v[40:43]// 0000000077D0: D3AD0028 1CA24170
	ds_read_b128 a[80:83], v21 offset:27648                    // 0000000077D8: DBFE6C00 50000015
	ds_read_b128 a[84:87], v21 offset:28672                    // 0000000077E0: DBFE7000 54000015
	ds_read_b128 a[88:91], v21 offset:29696                    // 0000000077E8: DBFE7400 58000015
	ds_read_b128 a[92:95], v21 offset:30720                    // 0000000077F0: DBFE7800 5C000015
	ds_read_b128 a[96:99], v21 offset:31744                    // 0000000077F8: DBFE7C00 60000015
	ds_read_b128 a[100:103], v21 offset:32768                  // 000000007800: DBFE8000 64000015
	ds_read_b128 a[104:107], v21 offset:33792                  // 000000007808: DBFE8400 68000015
	ds_read_b128 a[108:111], v21 offset:34816                  // 000000007810: DBFE8800 6C000015
	ds_read_b128 a[112:115], v21 offset:35840                  // 000000007818: DBFE8C00 70000015
	s_waitcnt lgkmcnt(4)                                       // 000000007820: BF8CC47F
	v_mfma_f32_16x16x128_f8f6f4 v[44:47], a[40:47], a[0:7], 0  // 000000007824: D3AD002C 1A020128
	ds_read_b64_tr_b8 a[120:121], v10                          // 00000000782C: DBC40000 7800000A
	ds_read_b64_tr_b8 a[122:123], v11                          // 000000007834: DBC40000 7A00000B
	ds_read_b64_tr_b8 a[124:125], v10 offset:18432             // 00000000783C: DBC44800 7C00000A
	ds_read_b64_tr_b8 a[126:127], v11 offset:18432             // 000000007844: DBC44800 7E00000B
	v_mfma_f32_16x16x128_f8f6f4 v[44:47], a[48:55], a[8:15], v[44:47]// 00000000784C: D3AD002C 1CB21130
	ds_read_b64_tr_b8 a[128:129], v12                          // 000000007854: DBC40000 8000000C
	ds_read_b64_tr_b8 a[130:131], v13                          // 00000000785C: DBC40000 8200000D
	ds_read_b64_tr_b8 a[132:133], v12 offset:18432             // 000000007864: DBC44800 8400000C
	ds_read_b64_tr_b8 a[134:135], v13 offset:18432             // 00000000786C: DBC44800 8600000D
	v_mfma_f32_16x16x128_f8f6f4 v[44:47], a[56:63], a[16:23], v[44:47]// 000000007874: D3AD002C 1CB22138
	ds_read_b64_tr_b8 a[136:137], v10 offset:1024              // 00000000787C: DBC40400 8800000A
	ds_read_b64_tr_b8 a[138:139], v11 offset:1024              // 000000007884: DBC40400 8A00000B
	ds_read_b64_tr_b8 a[140:141], v10 offset:19456             // 00000000788C: DBC44C00 8C00000A
	ds_read_b64_tr_b8 a[142:143], v11 offset:19456             // 000000007894: DBC44C00 8E00000B
	v_mfma_f32_16x16x128_f8f6f4 v[44:47], a[64:71], a[24:31], v[44:47]// 00000000789C: D3AD002C 1CB23140
	ds_read_b64_tr_b8 a[144:145], v12 offset:1024              // 0000000078A4: DBC40400 9000000C
	ds_read_b64_tr_b8 a[146:147], v13 offset:1024              // 0000000078AC: DBC40400 9200000D
	ds_read_b64_tr_b8 a[148:149], v12 offset:19456             // 0000000078B4: DBC44C00 9400000C
	ds_read_b64_tr_b8 a[150:151], v13 offset:19456             // 0000000078BC: DBC44C00 9600000D
	v_mfma_f32_16x16x128_f8f6f4 v[44:47], a[72:79], a[32:39], v[44:47]// 0000000078C4: D3AD002C 1CB24148
	ds_read_b64_tr_b8 a[152:153], v10 offset:2048              // 0000000078CC: DBC40800 9800000A
	ds_read_b64_tr_b8 a[154:155], v11 offset:2048              // 0000000078D4: DBC40800 9A00000B
	ds_read_b64_tr_b8 a[156:157], v10 offset:20480             // 0000000078DC: DBC45000 9C00000A
	ds_read_b64_tr_b8 a[158:159], v11 offset:20480             // 0000000078E4: DBC45000 9E00000B
	v_mfma_f32_16x16x128_f8f6f4 v[48:51], a[80:87], a[0:7], 0  // 0000000078EC: D3AD0030 1A020150
	ds_read_b64_tr_b8 a[160:161], v12 offset:2048              // 0000000078F4: DBC40800 A000000C
	ds_read_b64_tr_b8 a[162:163], v13 offset:2048              // 0000000078FC: DBC40800 A200000D
	ds_read_b64_tr_b8 a[164:165], v12 offset:20480             // 000000007904: DBC45000 A400000C
	ds_read_b64_tr_b8 a[166:167], v13 offset:20480             // 00000000790C: DBC45000 A600000D
	v_mfma_f32_16x16x128_f8f6f4 v[48:51], a[88:95], a[8:15], v[48:51]// 000000007914: D3AD0030 1CC21158
	ds_read_b64_tr_b8 a[168:169], v10 offset:3072              // 00000000791C: DBC40C00 A800000A
	ds_read_b64_tr_b8 a[170:171], v11 offset:3072              // 000000007924: DBC40C00 AA00000B
	ds_read_b64_tr_b8 a[172:173], v10 offset:21504             // 00000000792C: DBC45400 AC00000A
	ds_read_b64_tr_b8 a[174:175], v11 offset:21504             // 000000007934: DBC45400 AE00000B
	v_mfma_f32_16x16x128_f8f6f4 v[48:51], a[96:103], a[16:23], v[48:51]// 00000000793C: D3AD0030 1CC22160
	ds_read_b64_tr_b8 a[176:177], v12 offset:3072              // 000000007944: DBC40C00 B000000C
	ds_read_b64_tr_b8 a[178:179], v13 offset:3072              // 00000000794C: DBC40C00 B200000D
	ds_read_b64_tr_b8 a[180:181], v12 offset:21504             // 000000007954: DBC45400 B400000C
	ds_read_b64_tr_b8 a[182:183], v13 offset:21504             // 00000000795C: DBC45400 B600000D
	v_mfma_f32_16x16x128_f8f6f4 v[48:51], a[104:111], a[24:31], v[48:51]// 000000007964: D3AD0030 1CC23168
	v_mfma_f32_16x16x128_f8f6f4 v[48:51], a[112:119], a[32:39], v[48:51]// 00000000796C: D3AD0030 1CC24170
	s_nop 8                                                    // 000000007974: BF800008
	s_and_b32 s56, s48, 0xff                                   // 000000007978: 8638FF30 000000FF
	v_mov_b32_e32 v28, s56                                     // 000000007980: 7E380238
	v_lshrrev_b32_e32 v20, 4, v0                               // 000000007984: 20280084
	v_mul_i32_i24_e32 v20, 4, v20                              // 000000007988: 0C282884
	v_add_u32_e32 v21, 1, v20                                  // 00000000798C: 682A2881
	v_add_u32_e32 v22, 2, v20                                  // 000000007990: 682C2882
	v_add_u32_e32 v23, 3, v20                                  // 000000007994: 682E2883
	v_mov_b32_e32 v27, 0xff800000                              // 000000007998: 7E3602FF FF800000
	v_cmp_lt_u32_e64 s[36:37], v20, v28                        // 0000000079A0: D0C90024 00023914
	v_add_u32_e32 v20, 16, v20                                 // 0000000079A8: 68282890
	s_nop 0                                                    // 0000000079AC: BF800000
	v_cndmask_b32_e64 v36, v27, v36, s[36:37]                  // 0000000079B0: D1000024 0092491B
	v_cmp_lt_u32_e64 s[36:37], v21, v28                        // 0000000079B8: D0C90024 00023915
	v_add_u32_e32 v21, 16, v21                                 // 0000000079C0: 682A2A90
	s_nop 0                                                    // 0000000079C4: BF800000
	v_cndmask_b32_e64 v37, v27, v37, s[36:37]                  // 0000000079C8: D1000025 00924B1B
	v_cmp_lt_u32_e64 s[36:37], v22, v28                        // 0000000079D0: D0C90024 00023916
	v_add_u32_e32 v22, 16, v22                                 // 0000000079D8: 682C2C90
	s_nop 0                                                    // 0000000079DC: BF800000
	v_cndmask_b32_e64 v38, v27, v38, s[36:37]                  // 0000000079E0: D1000026 00924D1B
	v_cmp_lt_u32_e64 s[36:37], v23, v28                        // 0000000079E8: D0C90024 00023917
	v_add_u32_e32 v23, 16, v23                                 // 0000000079F0: 682E2E90
	s_nop 0                                                    // 0000000079F4: BF800000
	v_cndmask_b32_e64 v39, v27, v39, s[36:37]                  // 0000000079F8: D1000027 00924F1B
	v_cmp_lt_u32_e64 s[36:37], v20, v28                        // 000000007A00: D0C90024 00023914
	v_add_u32_e32 v20, 16, v20                                 // 000000007A08: 68282890
	s_nop 0                                                    // 000000007A0C: BF800000
	v_cndmask_b32_e64 v40, v27, v40, s[36:37]                  // 000000007A10: D1000028 0092511B
	v_cmp_lt_u32_e64 s[36:37], v21, v28                        // 000000007A18: D0C90024 00023915
	v_add_u32_e32 v21, 16, v21                                 // 000000007A20: 682A2A90
	s_nop 0                                                    // 000000007A24: BF800000
	v_cndmask_b32_e64 v41, v27, v41, s[36:37]                  // 000000007A28: D1000029 0092531B
	v_cmp_lt_u32_e64 s[36:37], v22, v28                        // 000000007A30: D0C90024 00023916
	v_add_u32_e32 v22, 16, v22                                 // 000000007A38: 682C2C90
	s_nop 0                                                    // 000000007A3C: BF800000
	v_cndmask_b32_e64 v42, v27, v42, s[36:37]                  // 000000007A40: D100002A 0092551B
	v_cmp_lt_u32_e64 s[36:37], v23, v28                        // 000000007A48: D0C90024 00023917
	v_add_u32_e32 v23, 16, v23                                 // 000000007A50: 682E2E90
	s_nop 0                                                    // 000000007A54: BF800000
	v_cndmask_b32_e64 v43, v27, v43, s[36:37]                  // 000000007A58: D100002B 0092571B
	v_cmp_lt_u32_e64 s[36:37], v20, v28                        // 000000007A60: D0C90024 00023914
	v_add_u32_e32 v20, 16, v20                                 // 000000007A68: 68282890
	s_nop 0                                                    // 000000007A6C: BF800000
	v_cndmask_b32_e64 v44, v27, v44, s[36:37]                  // 000000007A70: D100002C 0092591B
	v_cmp_lt_u32_e64 s[36:37], v21, v28                        // 000000007A78: D0C90024 00023915
	v_add_u32_e32 v21, 16, v21                                 // 000000007A80: 682A2A90
	s_nop 0                                                    // 000000007A84: BF800000
	v_cndmask_b32_e64 v45, v27, v45, s[36:37]                  // 000000007A88: D100002D 00925B1B
	v_cmp_lt_u32_e64 s[36:37], v22, v28                        // 000000007A90: D0C90024 00023916
	v_add_u32_e32 v22, 16, v22                                 // 000000007A98: 682C2C90
	s_nop 0                                                    // 000000007A9C: BF800000
	v_cndmask_b32_e64 v46, v27, v46, s[36:37]                  // 000000007AA0: D100002E 00925D1B
	v_cmp_lt_u32_e64 s[36:37], v23, v28                        // 000000007AA8: D0C90024 00023917
	v_add_u32_e32 v23, 16, v23                                 // 000000007AB0: 682E2E90
	s_nop 0                                                    // 000000007AB4: BF800000
	v_cndmask_b32_e64 v47, v27, v47, s[36:37]                  // 000000007AB8: D100002F 00925F1B
	v_cmp_lt_u32_e64 s[36:37], v20, v28                        // 000000007AC0: D0C90024 00023914
	v_add_u32_e32 v20, 16, v20                                 // 000000007AC8: 68282890
	s_nop 0                                                    // 000000007ACC: BF800000
	v_cndmask_b32_e64 v48, v27, v48, s[36:37]                  // 000000007AD0: D1000030 0092611B
	v_cmp_lt_u32_e64 s[36:37], v21, v28                        // 000000007AD8: D0C90024 00023915
	v_add_u32_e32 v21, 16, v21                                 // 000000007AE0: 682A2A90
	s_nop 0                                                    // 000000007AE4: BF800000
	v_cndmask_b32_e64 v49, v27, v49, s[36:37]                  // 000000007AE8: D1000031 0092631B
	v_cmp_lt_u32_e64 s[36:37], v22, v28                        // 000000007AF0: D0C90024 00023916
	v_add_u32_e32 v22, 16, v22                                 // 000000007AF8: 682C2C90
	s_nop 0                                                    // 000000007AFC: BF800000
	v_cndmask_b32_e64 v50, v27, v50, s[36:37]                  // 000000007B00: D1000032 0092651B
	v_cmp_lt_u32_e64 s[36:37], v23, v28                        // 000000007B08: D0C90024 00023917
	v_add_u32_e32 v23, 16, v23                                 // 000000007B10: 682E2E90
	s_nop 0                                                    // 000000007B14: BF800000
	v_cndmask_b32_e64 v51, v27, v51, s[36:37]                  // 000000007B18: D1000033 0092671B
	s_cmp_le_i32 s83, s82                                      // 000000007B20: BF055253
	s_cbranch_scc1 label_58D4                                  // 000000007B24: BF85006B
	v_mov_b32_e32 v27, s82                                     // 000000007B28: 7E360252
	v_add_u32_e32 v27, s7, v27                                 // 000000007B2C: 68363607
	s_sub_u32 s56, s83, 63                                     // 000000007B30: 80B8BF53
	v_lshrrev_b32_e32 v20, 4, v0                               // 000000007B34: 20280084
	v_mul_i32_i24_e32 v20, 4, v20                              // 000000007B38: 0C282884
	v_add_u32_e32 v20, s56, v20                                // 000000007B3C: 68282838
	v_add_u32_e32 v21, 1, v20                                  // 000000007B40: 682A2881
	v_add_u32_e32 v22, 2, v20                                  // 000000007B44: 682C2882
	v_add_u32_e32 v23, 3, v20                                  // 000000007B48: 682E2883
	v_mov_b32_e32 v28, 0xff800000                              // 000000007B4C: 7E3802FF FF800000
	v_cmp_le_u32_e64 s[36:37], v20, v27                        // 000000007B54: D0CB0024 00023714
	v_add_u32_e32 v20, 16, v20                                 // 000000007B5C: 68282890
	s_nop 0                                                    // 000000007B60: BF800000
	v_cndmask_b32_e64 v36, v28, v36, s[36:37]                  // 000000007B64: D1000024 0092491C
	v_cmp_le_u32_e64 s[36:37], v21, v27                        // 000000007B6C: D0CB0024 00023715
	v_add_u32_e32 v21, 16, v21                                 // 000000007B74: 682A2A90
	s_nop 0                                                    // 000000007B78: BF800000
	v_cndmask_b32_e64 v37, v28, v37, s[36:37]                  // 000000007B7C: D1000025 00924B1C
	v_cmp_le_u32_e64 s[36:37], v22, v27                        // 000000007B84: D0CB0024 00023716
	v_add_u32_e32 v22, 16, v22                                 // 000000007B8C: 682C2C90
	s_nop 0                                                    // 000000007B90: BF800000
	v_cndmask_b32_e64 v38, v28, v38, s[36:37]                  // 000000007B94: D1000026 00924D1C
	v_cmp_le_u32_e64 s[36:37], v23, v27                        // 000000007B9C: D0CB0024 00023717
	v_add_u32_e32 v23, 16, v23                                 // 000000007BA4: 682E2E90
	s_nop 0                                                    // 000000007BA8: BF800000
	v_cndmask_b32_e64 v39, v28, v39, s[36:37]                  // 000000007BAC: D1000027 00924F1C
	v_cmp_le_u32_e64 s[36:37], v20, v27                        // 000000007BB4: D0CB0024 00023714
	v_add_u32_e32 v20, 16, v20                                 // 000000007BBC: 68282890
	s_nop 0                                                    // 000000007BC0: BF800000
	v_cndmask_b32_e64 v40, v28, v40, s[36:37]                  // 000000007BC4: D1000028 0092511C
	v_cmp_le_u32_e64 s[36:37], v21, v27                        // 000000007BCC: D0CB0024 00023715
	v_add_u32_e32 v21, 16, v21                                 // 000000007BD4: 682A2A90
	s_nop 0                                                    // 000000007BD8: BF800000
	v_cndmask_b32_e64 v41, v28, v41, s[36:37]                  // 000000007BDC: D1000029 0092531C
	v_cmp_le_u32_e64 s[36:37], v22, v27                        // 000000007BE4: D0CB0024 00023716
	v_add_u32_e32 v22, 16, v22                                 // 000000007BEC: 682C2C90
	s_nop 0                                                    // 000000007BF0: BF800000
	v_cndmask_b32_e64 v42, v28, v42, s[36:37]                  // 000000007BF4: D100002A 0092551C
	v_cmp_le_u32_e64 s[36:37], v23, v27                        // 000000007BFC: D0CB0024 00023717
	v_add_u32_e32 v23, 16, v23                                 // 000000007C04: 682E2E90
	s_nop 0                                                    // 000000007C08: BF800000
	v_cndmask_b32_e64 v43, v28, v43, s[36:37]                  // 000000007C0C: D100002B 0092571C
	v_cmp_le_u32_e64 s[36:37], v20, v27                        // 000000007C14: D0CB0024 00023714
	v_add_u32_e32 v20, 16, v20                                 // 000000007C1C: 68282890
	s_nop 0                                                    // 000000007C20: BF800000
	v_cndmask_b32_e64 v44, v28, v44, s[36:37]                  // 000000007C24: D100002C 0092591C
	v_cmp_le_u32_e64 s[36:37], v21, v27                        // 000000007C2C: D0CB0024 00023715
	v_add_u32_e32 v21, 16, v21                                 // 000000007C34: 682A2A90
	s_nop 0                                                    // 000000007C38: BF800000
	v_cndmask_b32_e64 v45, v28, v45, s[36:37]                  // 000000007C3C: D100002D 00925B1C
	v_cmp_le_u32_e64 s[36:37], v22, v27                        // 000000007C44: D0CB0024 00023716
	v_add_u32_e32 v22, 16, v22                                 // 000000007C4C: 682C2C90
	s_nop 0                                                    // 000000007C50: BF800000
	v_cndmask_b32_e64 v46, v28, v46, s[36:37]                  // 000000007C54: D100002E 00925D1C
	v_cmp_le_u32_e64 s[36:37], v23, v27                        // 000000007C5C: D0CB0024 00023717
	v_add_u32_e32 v23, 16, v23                                 // 000000007C64: 682E2E90
	s_nop 0                                                    // 000000007C68: BF800000
	v_cndmask_b32_e64 v47, v28, v47, s[36:37]                  // 000000007C6C: D100002F 00925F1C
	v_cmp_le_u32_e64 s[36:37], v20, v27                        // 000000007C74: D0CB0024 00023714
	v_add_u32_e32 v20, 16, v20                                 // 000000007C7C: 68282890
	s_nop 0                                                    // 000000007C80: BF800000
	v_cndmask_b32_e64 v48, v28, v48, s[36:37]                  // 000000007C84: D1000030 0092611C
	v_cmp_le_u32_e64 s[36:37], v21, v27                        // 000000007C8C: D0CB0024 00023715
	v_add_u32_e32 v21, 16, v21                                 // 000000007C94: 682A2A90
	s_nop 0                                                    // 000000007C98: BF800000
	v_cndmask_b32_e64 v49, v28, v49, s[36:37]                  // 000000007C9C: D1000031 0092631C
	v_cmp_le_u32_e64 s[36:37], v22, v27                        // 000000007CA4: D0CB0024 00023716
	v_add_u32_e32 v22, 16, v22                                 // 000000007CAC: 682C2C90
	s_nop 0                                                    // 000000007CB0: BF800000
	v_cndmask_b32_e64 v50, v28, v50, s[36:37]                  // 000000007CB4: D1000032 0092651C
	v_cmp_le_u32_e64 s[36:37], v23, v27                        // 000000007CBC: D0CB0024 00023717
	v_add_u32_e32 v23, 16, v23                                 // 000000007CC4: 682E2E90
	s_nop 0                                                    // 000000007CC8: BF800000
	v_cndmask_b32_e64 v51, v28, v51, s[36:37]                  // 000000007CCC: D1000033 0092671C

0000000000007cd4 <label_58D4>:
	s_add_u32 s83, s84, s83                                    // 000000007CD4: 80535354
	s_nop 2                                                    // 000000007CD8: BF800002
	v_mov_b32_e32 v28, v36                                     // 000000007CDC: 7E380324
	v_max3_f32 v28, v36, v37, v28                              // 000000007CE0: D1D3001C 04724B24
	v_max3_f32 v28, v38, v39, v28                              // 000000007CE8: D1D3001C 04724F26
	v_max3_f32 v28, v40, v41, v28                              // 000000007CF0: D1D3001C 04725328
	v_max3_f32 v28, v42, v43, v28                              // 000000007CF8: D1D3001C 0472572A
	v_max3_f32 v28, v44, v45, v28                              // 000000007D00: D1D3001C 04725B2C
	v_max3_f32 v28, v46, v47, v28                              // 000000007D08: D1D3001C 04725F2E
	v_max3_f32 v28, v48, v49, v28                              // 000000007D10: D1D3001C 04726330
	v_max3_f32 v28, v50, v51, v28                              // 000000007D18: D1D3001C 04726732
	v_mov_b32_e32 v27, v28                                     // 000000007D20: 7E36031C
	v_mov_b32_e32 v28, v28                                     // 000000007D24: 7E38031C
	s_nop 1                                                    // 000000007D28: BF800001
	v_permlane16_swap_b32_e32 v27, v28                         // 000000007D2C: 7E36B31C
	v_mov_b32_e32 v30, v27                                     // 000000007D30: 7E3C031B
	v_mov_b32_e32 v29, v28                                     // 000000007D34: 7E3A031C
	s_nop 1                                                    // 000000007D38: BF800001
	v_permlane32_swap_b32_e32 v27, v28                         // 000000007D3C: 7E36B51C
	v_permlane32_swap_b32_e32 v29, v30                         // 000000007D40: 7E3AB51E
	v_max3_f32 v28, v27, v28, v28                              // 000000007D44: D1D3001C 0472391B
	v_max3_f32 v28, v29, v30, v28                              // 000000007D4C: D1D3001C 04723D1D
	v_mov_b32_e32 v27, 0xff800000                              // 000000007D54: 7E3602FF FF800000
	v_cmp_eq_u32_e64 s[36:37], v27, v2                         // 000000007D5C: D0CA0024 0002051B
	v_max_f32_e32 v28, v28, v2                                 // 000000007D64: 1638051C
	v_sub_f32_e32 v18, v2, v28                                 // 000000007D68: 04243902
	v_cndmask_b32_e64 v18, v18, 0, s[36:37]                    // 000000007D6C: D1000012 00910112
	v_mov_b32_e32 v2, v28                                      // 000000007D74: 7E04031C
	v_mul_f32_e32 v28, s5, v28                                 // 000000007D78: 0A383805
	v_mul_f32_e32 v18, s5, v18                                 // 000000007D7C: 0A242405
	v_exp_f32_e32 v18, v18                                     // 000000007D80: 7E244112
	v_fma_f32 v36, v36, s5, -v28                               // 000000007D84: D1CB0024 84700B24
	v_fma_f32 v37, v37, s5, -v28                               // 000000007D8C: D1CB0025 84700B25
	v_fma_f32 v38, v38, s5, -v28                               // 000000007D94: D1CB0026 84700B26
	v_fma_f32 v39, v39, s5, -v28                               // 000000007D9C: D1CB0027 84700B27
	v_fma_f32 v40, v40, s5, -v28                               // 000000007DA4: D1CB0028 84700B28
	v_fma_f32 v41, v41, s5, -v28                               // 000000007DAC: D1CB0029 84700B29
	v_fma_f32 v42, v42, s5, -v28                               // 000000007DB4: D1CB002A 84700B2A
	v_fma_f32 v43, v43, s5, -v28                               // 000000007DBC: D1CB002B 84700B2B
	v_fma_f32 v44, v44, s5, -v28                               // 000000007DC4: D1CB002C 84700B2C
	v_fma_f32 v45, v45, s5, -v28                               // 000000007DCC: D1CB002D 84700B2D
	v_fma_f32 v46, v46, s5, -v28                               // 000000007DD4: D1CB002E 84700B2E
	v_fma_f32 v47, v47, s5, -v28                               // 000000007DDC: D1CB002F 84700B2F
	v_fma_f32 v48, v48, s5, -v28                               // 000000007DE4: D1CB0030 84700B30
	v_fma_f32 v49, v49, s5, -v28                               // 000000007DEC: D1CB0031 84700B31
	v_fma_f32 v50, v50, s5, -v28                               // 000000007DF4: D1CB0032 84700B32
	v_fma_f32 v51, v51, s5, -v28                               // 000000007DFC: D1CB0033 84700B33
	v_exp_f32_e32 v36, v36                                     // 000000007E04: 7E484124
	v_exp_f32_e32 v37, v37                                     // 000000007E08: 7E4A4125
	v_exp_f32_e32 v38, v38                                     // 000000007E0C: 7E4C4126
	v_exp_f32_e32 v39, v39                                     // 000000007E10: 7E4E4127
	v_exp_f32_e32 v40, v40                                     // 000000007E14: 7E504128
	v_exp_f32_e32 v41, v41                                     // 000000007E18: 7E524129
	v_exp_f32_e32 v42, v42                                     // 000000007E1C: 7E54412A
	v_exp_f32_e32 v43, v43                                     // 000000007E20: 7E56412B
	v_exp_f32_e32 v44, v44                                     // 000000007E24: 7E58412C
	v_exp_f32_e32 v45, v45                                     // 000000007E28: 7E5A412D
	v_exp_f32_e32 v46, v46                                     // 000000007E2C: 7E5C412E
	v_exp_f32_e32 v47, v47                                     // 000000007E30: 7E5E412F
	v_exp_f32_e32 v48, v48                                     // 000000007E34: 7E604130
	v_exp_f32_e32 v49, v49                                     // 000000007E38: 7E624131
	v_exp_f32_e32 v50, v50                                     // 000000007E3C: 7E644132
	v_exp_f32_e32 v51, v51                                     // 000000007E40: 7E664133
	v_mul_f32_e32 v4, v18, v4                                  // 000000007E44: 0A080912
	v_mov_b32_e32 v27, v36                                     // 000000007E48: 7E360324
	v_add_f32_e32 v27, v37, v27                                // 000000007E4C: 02363725
	v_add_f32_e32 v27, v38, v27                                // 000000007E50: 02363726
	v_add_f32_e32 v27, v39, v27                                // 000000007E54: 02363727
	v_add_f32_e32 v27, v40, v27                                // 000000007E58: 02363728
	v_add_f32_e32 v27, v41, v27                                // 000000007E5C: 02363729
	v_add_f32_e32 v27, v42, v27                                // 000000007E60: 0236372A
	v_add_f32_e32 v27, v43, v27                                // 000000007E64: 0236372B
	v_add_f32_e32 v27, v44, v27                                // 000000007E68: 0236372C
	v_add_f32_e32 v27, v45, v27                                // 000000007E6C: 0236372D
	v_add_f32_e32 v27, v46, v27                                // 000000007E70: 0236372E
	v_add_f32_e32 v27, v47, v27                                // 000000007E74: 0236372F
	v_add_f32_e32 v27, v48, v27                                // 000000007E78: 02363730
	v_add_f32_e32 v27, v49, v27                                // 000000007E7C: 02363731
	v_add_f32_e32 v27, v50, v27                                // 000000007E80: 02363732
	v_add_f32_e32 v27, v51, v27                                // 000000007E84: 02363733
	v_add_f32_e32 v4, v27, v4                                  // 000000007E88: 0208091B
	v_cvt_pk_fp8_f32 v36, v36, v37                             // 000000007E8C: D2A20024 00024B24
	v_cvt_pk_fp8_f32 v36, v38, v39 op_sel:[0,0,1]              // 000000007E94: D2A24024 00024F26
	v_cvt_pk_fp8_f32 v37, v40, v41                             // 000000007E9C: D2A20025 00025328
	v_cvt_pk_fp8_f32 v37, v42, v43 op_sel:[0,0,1]              // 000000007EA4: D2A24025 0002572A
	v_cvt_pk_fp8_f32 v38, v44, v45                             // 000000007EAC: D2A20026 00025B2C
	v_cvt_pk_fp8_f32 v38, v46, v47 op_sel:[0,0,1]              // 000000007EB4: D2A24026 00025F2E
	v_cvt_pk_fp8_f32 v39, v48, v49                             // 000000007EBC: D2A20027 00026330
	v_cvt_pk_fp8_f32 v39, v50, v51 op_sel:[0,0,1]              // 000000007EC4: D2A24027 00026732
	s_nop 0                                                    // 000000007ECC: BF800000
	v_permlane16_swap_b32_e32 v36, v37                         // 000000007ED0: 7E48B325
	v_permlane16_swap_b32_e32 v38, v39                         // 000000007ED4: 7E4CB327
	s_nop 0                                                    // 000000007ED8: BF800000
	v_permlane32_swap_b32_e32 v36, v38                         // 000000007EDC: 7E48B526
	v_permlane32_swap_b32_e32 v37, v39                         // 000000007EE0: 7E4AB527
	ds_write_b128 v32, v[36:39]                                // 000000007EE4: D9BE0000 00002420
	s_waitcnt lgkmcnt(0)                                       // 000000007EEC: BF8CC07F
	s_barrier                                                  // 000000007EF0: BF8A0000
	ds_read_b128 v[36:39], v33                                 // 000000007EF4: D9FE0000 24000021
	ds_read_b128 v[40:43], v33 offset:1024                     // 000000007EFC: D9FE0400 28000021
	s_waitcnt lgkmcnt(0)                                       // 000000007F04: BF8CC07F
	v_permlane16_swap_b32_e32 v36, v40                         // 000000007F08: 7E48B328
	v_permlane16_swap_b32_e32 v37, v41                         // 000000007F0C: 7E4AB329
	v_permlane16_swap_b32_e32 v38, v42                         // 000000007F10: 7E4CB32A
	v_permlane16_swap_b32_e32 v39, v43                         // 000000007F14: 7E4EB32B
	v_permlane32_swap_b32_e32 v36, v40                         // 000000007F18: 7E48B528
	v_permlane32_swap_b32_e32 v37, v41                         // 000000007F1C: 7E4AB529
	v_permlane32_swap_b32_e32 v38, v42                         // 000000007F20: 7E4CB52A
	v_permlane32_swap_b32_e32 v39, v43                         // 000000007F24: 7E4EB52B
	ds_write_b32 v34, v18                                      // 000000007F28: D81A0000 00001222
	s_waitcnt lgkmcnt(0)                                       // 000000007F30: BF8CC07F
	s_barrier                                                  // 000000007F34: BF8A0000
	ds_read_b32 v27, v35                                       // 000000007F38: D86C0000 1B000023
	s_waitcnt lgkmcnt(0)                                       // 000000007F40: BF8CC07F
	v_mul_f32_e32 v52, v27, v52                                // 000000007F44: 0A68691B
	v_mul_f32_e32 v53, v27, v53                                // 000000007F48: 0A6A6B1B
	v_mul_f32_e32 v54, v27, v54                                // 000000007F4C: 0A6C6D1B
	v_mul_f32_e32 v55, v27, v55                                // 000000007F50: 0A6E6F1B
	v_mul_f32_e32 v56, v27, v56                                // 000000007F54: 0A70711B
	v_mul_f32_e32 v57, v27, v57                                // 000000007F58: 0A72731B
	v_mul_f32_e32 v58, v27, v58                                // 000000007F5C: 0A74751B
	v_mul_f32_e32 v59, v27, v59                                // 000000007F60: 0A76771B
	v_mul_f32_e32 v60, v27, v60                                // 000000007F64: 0A78791B
	v_mul_f32_e32 v61, v27, v61                                // 000000007F68: 0A7A7B1B
	v_mul_f32_e32 v62, v27, v62                                // 000000007F6C: 0A7C7D1B
	v_mul_f32_e32 v63, v27, v63                                // 000000007F70: 0A7E7F1B
	v_mul_f32_e32 v64, v27, v64                                // 000000007F74: 0A80811B
	v_mul_f32_e32 v65, v27, v65                                // 000000007F78: 0A82831B
	v_mul_f32_e32 v66, v27, v66                                // 000000007F7C: 0A84851B
	v_mul_f32_e32 v67, v27, v67                                // 000000007F80: 0A86871B
	v_mul_f32_e32 v68, v27, v68                                // 000000007F84: 0A88891B
	v_mul_f32_e32 v69, v27, v69                                // 000000007F88: 0A8A8B1B
	v_mul_f32_e32 v70, v27, v70                                // 000000007F8C: 0A8C8D1B
	v_mul_f32_e32 v71, v27, v71                                // 000000007F90: 0A8E8F1B
	v_mul_f32_e32 v72, v27, v72                                // 000000007F94: 0A90911B
	v_mul_f32_e32 v73, v27, v73                                // 000000007F98: 0A92931B
	v_mul_f32_e32 v74, v27, v74                                // 000000007F9C: 0A94951B
	v_mul_f32_e32 v75, v27, v75                                // 000000007FA0: 0A96971B
	v_mul_f32_e32 v76, v27, v76                                // 000000007FA4: 0A98991B
	v_mul_f32_e32 v77, v27, v77                                // 000000007FA8: 0A9A9B1B
	v_mul_f32_e32 v78, v27, v78                                // 000000007FAC: 0A9C9D1B
	v_mul_f32_e32 v79, v27, v79                                // 000000007FB0: 0A9E9F1B
	v_mul_f32_e32 v80, v27, v80                                // 000000007FB4: 0AA0A11B
	v_mul_f32_e32 v81, v27, v81                                // 000000007FB8: 0AA2A31B
	v_mul_f32_e32 v82, v27, v82                                // 000000007FBC: 0AA4A51B
	v_mul_f32_e32 v83, v27, v83                                // 000000007FC0: 0AA6A71B
	v_mul_f32_e32 v84, v27, v84                                // 000000007FC4: 0AA8A91B
	v_mul_f32_e32 v85, v27, v85                                // 000000007FC8: 0AAAAB1B
	v_mul_f32_e32 v86, v27, v86                                // 000000007FCC: 0AACAD1B
	v_mul_f32_e32 v87, v27, v87                                // 000000007FD0: 0AAEAF1B
	v_mul_f32_e32 v88, v27, v88                                // 000000007FD4: 0AB0B11B
	v_mul_f32_e32 v89, v27, v89                                // 000000007FD8: 0AB2B31B
	v_mul_f32_e32 v90, v27, v90                                // 000000007FDC: 0AB4B51B
	v_mul_f32_e32 v91, v27, v91                                // 000000007FE0: 0AB6B71B
	v_mul_f32_e32 v92, v27, v92                                // 000000007FE4: 0AB8B91B
	v_mul_f32_e32 v93, v27, v93                                // 000000007FE8: 0ABABB1B
	v_mul_f32_e32 v94, v27, v94                                // 000000007FEC: 0ABCBD1B
	v_mul_f32_e32 v95, v27, v95                                // 000000007FF0: 0ABEBF1B
	v_mul_f32_e32 v96, v27, v96                                // 000000007FF4: 0AC0C11B
	v_mul_f32_e32 v97, v27, v97                                // 000000007FF8: 0AC2C31B
	v_mul_f32_e32 v98, v27, v98                                // 000000007FFC: 0AC4C51B
	v_mul_f32_e32 v99, v27, v99                                // 000000008000: 0AC6C71B
	v_mul_f32_e32 v100, v27, v100                              // 000000008004: 0AC8C91B
	v_mul_f32_e32 v101, v27, v101                              // 000000008008: 0ACACB1B
	v_mul_f32_e32 v102, v27, v102                              // 00000000800C: 0ACCCD1B
	v_mul_f32_e32 v103, v27, v103                              // 000000008010: 0ACECF1B
	v_mul_f32_e32 v104, v27, v104                              // 000000008014: 0AD0D11B
	v_mul_f32_e32 v105, v27, v105                              // 000000008018: 0AD2D31B
	v_mul_f32_e32 v106, v27, v106                              // 00000000801C: 0AD4D51B
	v_mul_f32_e32 v107, v27, v107                              // 000000008020: 0AD6D71B
	v_mul_f32_e32 v108, v27, v108                              // 000000008024: 0AD8D91B
	v_mul_f32_e32 v109, v27, v109                              // 000000008028: 0ADADB1B
	v_mul_f32_e32 v110, v27, v110                              // 00000000802C: 0ADCDD1B
	v_mul_f32_e32 v111, v27, v111                              // 000000008030: 0ADEDF1B
	v_mul_f32_e32 v112, v27, v112                              // 000000008034: 0AE0E11B
	v_mul_f32_e32 v113, v27, v113                              // 000000008038: 0AE2E31B
	v_mul_f32_e32 v114, v27, v114                              // 00000000803C: 0AE4E51B
	v_mul_f32_e32 v115, v27, v115                              // 000000008040: 0AE6E71B
	v_mul_f32_e32 v116, v27, v116                              // 000000008044: 0AE8E91B
	v_mul_f32_e32 v117, v27, v117                              // 000000008048: 0AEAEB1B
	v_mul_f32_e32 v118, v27, v118                              // 00000000804C: 0AECED1B
	v_mul_f32_e32 v119, v27, v119                              // 000000008050: 0AEEEF1B
	v_mul_f32_e32 v120, v27, v120                              // 000000008054: 0AF0F11B
	v_mul_f32_e32 v121, v27, v121                              // 000000008058: 0AF2F31B
	v_mul_f32_e32 v122, v27, v122                              // 00000000805C: 0AF4F51B
	v_mul_f32_e32 v123, v27, v123                              // 000000008060: 0AF6F71B
	v_mul_f32_e32 v124, v27, v124                              // 000000008064: 0AF8F91B
	v_mul_f32_e32 v125, v27, v125                              // 000000008068: 0AFAFB1B
	v_mul_f32_e32 v126, v27, v126                              // 00000000806C: 0AFCFD1B
	v_mul_f32_e32 v127, v27, v127                              // 000000008070: 0AFEFF1B
	v_mul_f32_e32 v128, v27, v128                              // 000000008074: 0B01011B
	v_mul_f32_e32 v129, v27, v129                              // 000000008078: 0B03031B
	v_mul_f32_e32 v130, v27, v130                              // 00000000807C: 0B05051B
	v_mul_f32_e32 v131, v27, v131                              // 000000008080: 0B07071B
	v_mul_f32_e32 v132, v27, v132                              // 000000008084: 0B09091B
	v_mul_f32_e32 v133, v27, v133                              // 000000008088: 0B0B0B1B
	v_mul_f32_e32 v134, v27, v134                              // 00000000808C: 0B0D0D1B
	v_mul_f32_e32 v135, v27, v135                              // 000000008090: 0B0F0F1B
	v_mul_f32_e32 v136, v27, v136                              // 000000008094: 0B11111B
	v_mul_f32_e32 v137, v27, v137                              // 000000008098: 0B13131B
	v_mul_f32_e32 v138, v27, v138                              // 00000000809C: 0B15151B
	v_mul_f32_e32 v139, v27, v139                              // 0000000080A0: 0B17171B
	v_mul_f32_e32 v140, v27, v140                              // 0000000080A4: 0B19191B
	v_mul_f32_e32 v141, v27, v141                              // 0000000080A8: 0B1B1B1B
	v_mul_f32_e32 v142, v27, v142                              // 0000000080AC: 0B1D1D1B
	v_mul_f32_e32 v143, v27, v143                              // 0000000080B0: 0B1F1F1B
	v_mul_f32_e32 v144, v27, v144                              // 0000000080B4: 0B21211B
	v_mul_f32_e32 v145, v27, v145                              // 0000000080B8: 0B23231B
	v_mul_f32_e32 v146, v27, v146                              // 0000000080BC: 0B25251B
	v_mul_f32_e32 v147, v27, v147                              // 0000000080C0: 0B27271B
	v_mul_f32_e32 v148, v27, v148                              // 0000000080C4: 0B29291B
	v_mul_f32_e32 v149, v27, v149                              // 0000000080C8: 0B2B2B1B
	v_mul_f32_e32 v150, v27, v150                              // 0000000080CC: 0B2D2D1B
	v_mul_f32_e32 v151, v27, v151                              // 0000000080D0: 0B2F2F1B
	v_mul_f32_e32 v152, v27, v152                              // 0000000080D4: 0B31311B
	v_mul_f32_e32 v153, v27, v153                              // 0000000080D8: 0B33331B
	v_mul_f32_e32 v154, v27, v154                              // 0000000080DC: 0B35351B
	v_mul_f32_e32 v155, v27, v155                              // 0000000080E0: 0B37371B
	v_mul_f32_e32 v156, v27, v156                              // 0000000080E4: 0B39391B
	v_mul_f32_e32 v157, v27, v157                              // 0000000080E8: 0B3B3B1B
	v_mul_f32_e32 v158, v27, v158                              // 0000000080EC: 0B3D3D1B
	v_mul_f32_e32 v159, v27, v159                              // 0000000080F0: 0B3F3F1B
	v_mul_f32_e32 v160, v27, v160                              // 0000000080F4: 0B41411B
	v_mul_f32_e32 v161, v27, v161                              // 0000000080F8: 0B43431B
	v_mul_f32_e32 v162, v27, v162                              // 0000000080FC: 0B45451B
	v_mul_f32_e32 v163, v27, v163                              // 000000008100: 0B47471B
	v_mul_f32_e32 v164, v27, v164                              // 000000008104: 0B49491B
	v_mul_f32_e32 v165, v27, v165                              // 000000008108: 0B4B4B1B
	v_mul_f32_e32 v166, v27, v166                              // 00000000810C: 0B4D4D1B
	v_mul_f32_e32 v167, v27, v167                              // 000000008110: 0B4F4F1B
	v_mul_f32_e32 v168, v27, v168                              // 000000008114: 0B51511B
	v_mul_f32_e32 v169, v27, v169                              // 000000008118: 0B53531B
	v_mul_f32_e32 v170, v27, v170                              // 00000000811C: 0B55551B
	v_mul_f32_e32 v171, v27, v171                              // 000000008120: 0B57571B
	v_mul_f32_e32 v172, v27, v172                              // 000000008124: 0B59591B
	v_mul_f32_e32 v173, v27, v173                              // 000000008128: 0B5B5B1B
	v_mul_f32_e32 v174, v27, v174                              // 00000000812C: 0B5D5D1B
	v_mul_f32_e32 v175, v27, v175                              // 000000008130: 0B5F5F1B
	v_mul_f32_e32 v176, v27, v176                              // 000000008134: 0B61611B
	v_mul_f32_e32 v177, v27, v177                              // 000000008138: 0B63631B
	v_mul_f32_e32 v178, v27, v178                              // 00000000813C: 0B65651B
	v_mul_f32_e32 v179, v27, v179                              // 000000008140: 0B67671B
	v_mfma_f32_32x32x64_f8f6f4 v[52:67], a[120:127], v[36:43], v[52:67]// 000000008144: D3AE0034 0CD24978
	v_mfma_f32_32x32x64_f8f6f4 v[68:83], a[128:135], v[36:43], v[68:83]// 00000000814C: D3AE0044 0D124980
	v_mfma_f32_32x32x64_f8f6f4 v[84:99], a[136:143], v[36:43], v[84:99]// 000000008154: D3AE0054 0D524988
	v_mfma_f32_32x32x64_f8f6f4 v[100:115], a[144:151], v[36:43], v[100:115]// 00000000815C: D3AE0064 0D924990
	v_mfma_f32_32x32x64_f8f6f4 v[116:131], a[152:159], v[36:43], v[116:131]// 000000008164: D3AE0074 0DD24998
	v_mfma_f32_32x32x64_f8f6f4 v[132:147], a[160:167], v[36:43], v[132:147]// 00000000816C: D3AE0084 0E1249A0
	v_mfma_f32_32x32x64_f8f6f4 v[148:163], a[168:175], v[36:43], v[148:163]// 000000008174: D3AE0094 0E5249A8
	v_mfma_f32_32x32x64_f8f6f4 v[164:179], a[176:183], v[36:43], v[164:179]// 00000000817C: D3AE00A4 0E9249B0
	s_waitcnt lgkmcnt(0)                                       // 000000008184: BF8CC07F
	s_nop 8                                                    // 000000008188: BF800008
	s_branch label_69EC                                        // 00000000818C: BF820295

0000000000008190 <label_5D90>:
	s_waitcnt lgkmcnt(4)                                       // 000000008190: BF8CC47F
	v_mfma_f32_16x16x128_f8f6f4 v[36:39], a[40:47], a[0:7], 0  // 000000008194: D3AD0024 1A020128
	ds_read_b128 a[40:43], v22 offset:18432                    // 00000000819C: DBFE4800 28000016
	v_mfma_f32_16x16x128_f8f6f4 v[36:39], a[48:55], a[8:15], v[36:39]// 0000000081A4: D3AD0024 1C921130
	ds_read_b128 a[44:47], v22 offset:19456                    // 0000000081AC: DBFE4C00 2C000016
	v_mfma_f32_16x16x128_f8f6f4 v[36:39], a[56:63], a[16:23], v[36:39]// 0000000081B4: D3AD0024 1C922138
	ds_read_b128 a[48:51], v22 offset:20480                    // 0000000081BC: DBFE5000 30000016
	v_mfma_f32_16x16x128_f8f6f4 v[36:39], a[64:71], a[24:31], v[36:39]// 0000000081C4: D3AD0024 1C923140
	ds_read_b128 a[52:55], v22 offset:21504                    // 0000000081CC: DBFE5400 34000016
	v_mfma_f32_16x16x128_f8f6f4 v[36:39], a[72:79], a[32:39], v[36:39]// 0000000081D4: D3AD0024 1C924148
	ds_read_b128 a[56:59], v22 offset:22528                    // 0000000081DC: DBFE5800 38000016
	v_mfma_f32_16x16x128_f8f6f4 v[40:43], a[80:87], a[0:7], 0  // 0000000081E4: D3AD0028 1A020150
	ds_read_b128 a[60:63], v22 offset:23552                    // 0000000081EC: DBFE5C00 3C000016
	v_mfma_f32_16x16x128_f8f6f4 v[40:43], a[88:95], a[8:15], v[40:43]// 0000000081F4: D3AD0028 1CA21158
	ds_read_b128 a[64:67], v22 offset:24576                    // 0000000081FC: DBFE6000 40000016
	v_mfma_f32_16x16x128_f8f6f4 v[40:43], a[96:103], a[16:23], v[40:43]// 000000008204: D3AD0028 1CA22160
	ds_read_b128 a[68:71], v22 offset:25600                    // 00000000820C: DBFE6400 44000016
	v_mfma_f32_16x16x128_f8f6f4 v[40:43], a[104:111], a[24:31], v[40:43]// 000000008214: D3AD0028 1CA23168
	ds_read_b128 a[72:75], v22 offset:26624                    // 00000000821C: DBFE6800 48000016
	v_mfma_f32_16x16x128_f8f6f4 v[40:43], a[112:119], a[32:39], v[40:43]// 000000008224: D3AD0028 1CA24170
	ds_read_b128 a[80:83], v22 offset:27648                    // 00000000822C: DBFE6C00 50000016
	ds_read_b128 a[84:87], v22 offset:28672                    // 000000008234: DBFE7000 54000016
	ds_read_b128 a[88:91], v22 offset:29696                    // 00000000823C: DBFE7400 58000016
	ds_read_b128 a[92:95], v22 offset:30720                    // 000000008244: DBFE7800 5C000016
	ds_read_b128 a[96:99], v22 offset:31744                    // 00000000824C: DBFE7C00 60000016
	ds_read_b128 a[100:103], v22 offset:32768                  // 000000008254: DBFE8000 64000016
	ds_read_b128 a[104:107], v22 offset:33792                  // 00000000825C: DBFE8400 68000016
	ds_read_b128 a[108:111], v22 offset:34816                  // 000000008264: DBFE8800 6C000016
	ds_read_b128 a[112:115], v22 offset:35840                  // 00000000826C: DBFE8C00 70000016
	s_waitcnt lgkmcnt(4)                                       // 000000008274: BF8CC47F
	v_mfma_f32_16x16x128_f8f6f4 v[44:47], a[40:47], a[0:7], 0  // 000000008278: D3AD002C 1A020128
	ds_read_b64_tr_b8 a[120:121], v14                          // 000000008280: DBC40000 7800000E
	ds_read_b64_tr_b8 a[122:123], v15                          // 000000008288: DBC40000 7A00000F
	ds_read_b64_tr_b8 a[124:125], v14 offset:18432             // 000000008290: DBC44800 7C00000E
	ds_read_b64_tr_b8 a[126:127], v15 offset:18432             // 000000008298: DBC44800 7E00000F
	v_mfma_f32_16x16x128_f8f6f4 v[44:47], a[48:55], a[8:15], v[44:47]// 0000000082A0: D3AD002C 1CB21130
	ds_read_b64_tr_b8 a[128:129], v16                          // 0000000082A8: DBC40000 80000010
	ds_read_b64_tr_b8 a[130:131], v17                          // 0000000082B0: DBC40000 82000011
	ds_read_b64_tr_b8 a[132:133], v16 offset:18432             // 0000000082B8: DBC44800 84000010
	ds_read_b64_tr_b8 a[134:135], v17 offset:18432             // 0000000082C0: DBC44800 86000011
	v_mfma_f32_16x16x128_f8f6f4 v[44:47], a[56:63], a[16:23], v[44:47]// 0000000082C8: D3AD002C 1CB22138
	ds_read_b64_tr_b8 a[136:137], v14 offset:1024              // 0000000082D0: DBC40400 8800000E
	ds_read_b64_tr_b8 a[138:139], v15 offset:1024              // 0000000082D8: DBC40400 8A00000F
	ds_read_b64_tr_b8 a[140:141], v14 offset:19456             // 0000000082E0: DBC44C00 8C00000E
	ds_read_b64_tr_b8 a[142:143], v15 offset:19456             // 0000000082E8: DBC44C00 8E00000F
	v_mfma_f32_16x16x128_f8f6f4 v[44:47], a[64:71], a[24:31], v[44:47]// 0000000082F0: D3AD002C 1CB23140
	ds_read_b64_tr_b8 a[144:145], v16 offset:1024              // 0000000082F8: DBC40400 90000010
	ds_read_b64_tr_b8 a[146:147], v17 offset:1024              // 000000008300: DBC40400 92000011
	ds_read_b64_tr_b8 a[148:149], v16 offset:19456             // 000000008308: DBC44C00 94000010
	ds_read_b64_tr_b8 a[150:151], v17 offset:19456             // 000000008310: DBC44C00 96000011
	v_mfma_f32_16x16x128_f8f6f4 v[44:47], a[72:79], a[32:39], v[44:47]// 000000008318: D3AD002C 1CB24148
	ds_read_b64_tr_b8 a[152:153], v14 offset:2048              // 000000008320: DBC40800 9800000E
	ds_read_b64_tr_b8 a[154:155], v15 offset:2048              // 000000008328: DBC40800 9A00000F
	ds_read_b64_tr_b8 a[156:157], v14 offset:20480             // 000000008330: DBC45000 9C00000E
	ds_read_b64_tr_b8 a[158:159], v15 offset:20480             // 000000008338: DBC45000 9E00000F
	v_mfma_f32_16x16x128_f8f6f4 v[48:51], a[80:87], a[0:7], 0  // 000000008340: D3AD0030 1A020150
	ds_read_b64_tr_b8 a[160:161], v16 offset:2048              // 000000008348: DBC40800 A0000010
	ds_read_b64_tr_b8 a[162:163], v17 offset:2048              // 000000008350: DBC40800 A2000011
	ds_read_b64_tr_b8 a[164:165], v16 offset:20480             // 000000008358: DBC45000 A4000010
	ds_read_b64_tr_b8 a[166:167], v17 offset:20480             // 000000008360: DBC45000 A6000011
	v_mfma_f32_16x16x128_f8f6f4 v[48:51], a[88:95], a[8:15], v[48:51]// 000000008368: D3AD0030 1CC21158
	ds_read_b64_tr_b8 a[168:169], v14 offset:3072              // 000000008370: DBC40C00 A800000E
	ds_read_b64_tr_b8 a[170:171], v15 offset:3072              // 000000008378: DBC40C00 AA00000F
	ds_read_b64_tr_b8 a[172:173], v14 offset:21504             // 000000008380: DBC45400 AC00000E
	ds_read_b64_tr_b8 a[174:175], v15 offset:21504             // 000000008388: DBC45400 AE00000F
	v_mfma_f32_16x16x128_f8f6f4 v[48:51], a[96:103], a[16:23], v[48:51]// 000000008390: D3AD0030 1CC22160
	ds_read_b64_tr_b8 a[176:177], v16 offset:3072              // 000000008398: DBC40C00 B0000010
	ds_read_b64_tr_b8 a[178:179], v17 offset:3072              // 0000000083A0: DBC40C00 B2000011
	ds_read_b64_tr_b8 a[180:181], v16 offset:21504             // 0000000083A8: DBC45400 B4000010
	ds_read_b64_tr_b8 a[182:183], v17 offset:21504             // 0000000083B0: DBC45400 B6000011
	v_mfma_f32_16x16x128_f8f6f4 v[48:51], a[104:111], a[24:31], v[48:51]// 0000000083B8: D3AD0030 1CC23168
	v_mfma_f32_16x16x128_f8f6f4 v[48:51], a[112:119], a[32:39], v[48:51]// 0000000083C0: D3AD0030 1CC24170
	s_nop 8                                                    // 0000000083C8: BF800008
	s_and_b32 s56, s48, 0xff                                   // 0000000083CC: 8638FF30 000000FF
	v_mov_b32_e32 v28, s56                                     // 0000000083D4: 7E380238
	v_lshrrev_b32_e32 v20, 4, v0                               // 0000000083D8: 20280084
	v_mul_i32_i24_e32 v20, 4, v20                              // 0000000083DC: 0C282884
	v_add_u32_e32 v21, 1, v20                                  // 0000000083E0: 682A2881
	v_add_u32_e32 v22, 2, v20                                  // 0000000083E4: 682C2882
	v_add_u32_e32 v23, 3, v20                                  // 0000000083E8: 682E2883
	v_mov_b32_e32 v27, 0xff800000                              // 0000000083EC: 7E3602FF FF800000
	v_cmp_lt_u32_e64 s[36:37], v20, v28                        // 0000000083F4: D0C90024 00023914
	v_add_u32_e32 v20, 16, v20                                 // 0000000083FC: 68282890
	s_nop 0                                                    // 000000008400: BF800000
	v_cndmask_b32_e64 v36, v27, v36, s[36:37]                  // 000000008404: D1000024 0092491B
	v_cmp_lt_u32_e64 s[36:37], v21, v28                        // 00000000840C: D0C90024 00023915
	v_add_u32_e32 v21, 16, v21                                 // 000000008414: 682A2A90
	s_nop 0                                                    // 000000008418: BF800000
	v_cndmask_b32_e64 v37, v27, v37, s[36:37]                  // 00000000841C: D1000025 00924B1B
	v_cmp_lt_u32_e64 s[36:37], v22, v28                        // 000000008424: D0C90024 00023916
	v_add_u32_e32 v22, 16, v22                                 // 00000000842C: 682C2C90
	s_nop 0                                                    // 000000008430: BF800000
	v_cndmask_b32_e64 v38, v27, v38, s[36:37]                  // 000000008434: D1000026 00924D1B
	v_cmp_lt_u32_e64 s[36:37], v23, v28                        // 00000000843C: D0C90024 00023917
	v_add_u32_e32 v23, 16, v23                                 // 000000008444: 682E2E90
	s_nop 0                                                    // 000000008448: BF800000
	v_cndmask_b32_e64 v39, v27, v39, s[36:37]                  // 00000000844C: D1000027 00924F1B
	v_cmp_lt_u32_e64 s[36:37], v20, v28                        // 000000008454: D0C90024 00023914
	v_add_u32_e32 v20, 16, v20                                 // 00000000845C: 68282890
	s_nop 0                                                    // 000000008460: BF800000
	v_cndmask_b32_e64 v40, v27, v40, s[36:37]                  // 000000008464: D1000028 0092511B
	v_cmp_lt_u32_e64 s[36:37], v21, v28                        // 00000000846C: D0C90024 00023915
	v_add_u32_e32 v21, 16, v21                                 // 000000008474: 682A2A90
	s_nop 0                                                    // 000000008478: BF800000
	v_cndmask_b32_e64 v41, v27, v41, s[36:37]                  // 00000000847C: D1000029 0092531B
	v_cmp_lt_u32_e64 s[36:37], v22, v28                        // 000000008484: D0C90024 00023916
	v_add_u32_e32 v22, 16, v22                                 // 00000000848C: 682C2C90
	s_nop 0                                                    // 000000008490: BF800000
	v_cndmask_b32_e64 v42, v27, v42, s[36:37]                  // 000000008494: D100002A 0092551B
	v_cmp_lt_u32_e64 s[36:37], v23, v28                        // 00000000849C: D0C90024 00023917
	v_add_u32_e32 v23, 16, v23                                 // 0000000084A4: 682E2E90
	s_nop 0                                                    // 0000000084A8: BF800000
	v_cndmask_b32_e64 v43, v27, v43, s[36:37]                  // 0000000084AC: D100002B 0092571B
	v_cmp_lt_u32_e64 s[36:37], v20, v28                        // 0000000084B4: D0C90024 00023914
	v_add_u32_e32 v20, 16, v20                                 // 0000000084BC: 68282890
	s_nop 0                                                    // 0000000084C0: BF800000
	v_cndmask_b32_e64 v44, v27, v44, s[36:37]                  // 0000000084C4: D100002C 0092591B
	v_cmp_lt_u32_e64 s[36:37], v21, v28                        // 0000000084CC: D0C90024 00023915
	v_add_u32_e32 v21, 16, v21                                 // 0000000084D4: 682A2A90
	s_nop 0                                                    // 0000000084D8: BF800000
	v_cndmask_b32_e64 v45, v27, v45, s[36:37]                  // 0000000084DC: D100002D 00925B1B
	v_cmp_lt_u32_e64 s[36:37], v22, v28                        // 0000000084E4: D0C90024 00023916
	v_add_u32_e32 v22, 16, v22                                 // 0000000084EC: 682C2C90
	s_nop 0                                                    // 0000000084F0: BF800000
	v_cndmask_b32_e64 v46, v27, v46, s[36:37]                  // 0000000084F4: D100002E 00925D1B
	v_cmp_lt_u32_e64 s[36:37], v23, v28                        // 0000000084FC: D0C90024 00023917
	v_add_u32_e32 v23, 16, v23                                 // 000000008504: 682E2E90
	s_nop 0                                                    // 000000008508: BF800000
	v_cndmask_b32_e64 v47, v27, v47, s[36:37]                  // 00000000850C: D100002F 00925F1B
	v_cmp_lt_u32_e64 s[36:37], v20, v28                        // 000000008514: D0C90024 00023914
	v_add_u32_e32 v20, 16, v20                                 // 00000000851C: 68282890
	s_nop 0                                                    // 000000008520: BF800000
	v_cndmask_b32_e64 v48, v27, v48, s[36:37]                  // 000000008524: D1000030 0092611B
	v_cmp_lt_u32_e64 s[36:37], v21, v28                        // 00000000852C: D0C90024 00023915
	v_add_u32_e32 v21, 16, v21                                 // 000000008534: 682A2A90
	s_nop 0                                                    // 000000008538: BF800000
	v_cndmask_b32_e64 v49, v27, v49, s[36:37]                  // 00000000853C: D1000031 0092631B
	v_cmp_lt_u32_e64 s[36:37], v22, v28                        // 000000008544: D0C90024 00023916
	v_add_u32_e32 v22, 16, v22                                 // 00000000854C: 682C2C90
	s_nop 0                                                    // 000000008550: BF800000
	v_cndmask_b32_e64 v50, v27, v50, s[36:37]                  // 000000008554: D1000032 0092651B
	v_cmp_lt_u32_e64 s[36:37], v23, v28                        // 00000000855C: D0C90024 00023917
	v_add_u32_e32 v23, 16, v23                                 // 000000008564: 682E2E90
	s_nop 0                                                    // 000000008568: BF800000
	v_cndmask_b32_e64 v51, v27, v51, s[36:37]                  // 00000000856C: D1000033 0092671B
	s_cmp_le_i32 s83, s82                                      // 000000008574: BF055253
	s_cbranch_scc1 label_6328                                  // 000000008578: BF85006B
	v_mov_b32_e32 v27, s82                                     // 00000000857C: 7E360252
	v_add_u32_e32 v27, s7, v27                                 // 000000008580: 68363607
	s_sub_u32 s56, s83, 63                                     // 000000008584: 80B8BF53
	v_lshrrev_b32_e32 v20, 4, v0                               // 000000008588: 20280084
	v_mul_i32_i24_e32 v20, 4, v20                              // 00000000858C: 0C282884
	v_add_u32_e32 v20, s56, v20                                // 000000008590: 68282838
	v_add_u32_e32 v21, 1, v20                                  // 000000008594: 682A2881
	v_add_u32_e32 v22, 2, v20                                  // 000000008598: 682C2882
	v_add_u32_e32 v23, 3, v20                                  // 00000000859C: 682E2883
	v_mov_b32_e32 v28, 0xff800000                              // 0000000085A0: 7E3802FF FF800000
	v_cmp_le_u32_e64 s[36:37], v20, v27                        // 0000000085A8: D0CB0024 00023714
	v_add_u32_e32 v20, 16, v20                                 // 0000000085B0: 68282890
	s_nop 0                                                    // 0000000085B4: BF800000
	v_cndmask_b32_e64 v36, v28, v36, s[36:37]                  // 0000000085B8: D1000024 0092491C
	v_cmp_le_u32_e64 s[36:37], v21, v27                        // 0000000085C0: D0CB0024 00023715
	v_add_u32_e32 v21, 16, v21                                 // 0000000085C8: 682A2A90
	s_nop 0                                                    // 0000000085CC: BF800000
	v_cndmask_b32_e64 v37, v28, v37, s[36:37]                  // 0000000085D0: D1000025 00924B1C
	v_cmp_le_u32_e64 s[36:37], v22, v27                        // 0000000085D8: D0CB0024 00023716
	v_add_u32_e32 v22, 16, v22                                 // 0000000085E0: 682C2C90
	s_nop 0                                                    // 0000000085E4: BF800000
	v_cndmask_b32_e64 v38, v28, v38, s[36:37]                  // 0000000085E8: D1000026 00924D1C
	v_cmp_le_u32_e64 s[36:37], v23, v27                        // 0000000085F0: D0CB0024 00023717
	v_add_u32_e32 v23, 16, v23                                 // 0000000085F8: 682E2E90
	s_nop 0                                                    // 0000000085FC: BF800000
	v_cndmask_b32_e64 v39, v28, v39, s[36:37]                  // 000000008600: D1000027 00924F1C
	v_cmp_le_u32_e64 s[36:37], v20, v27                        // 000000008608: D0CB0024 00023714
	v_add_u32_e32 v20, 16, v20                                 // 000000008610: 68282890
	s_nop 0                                                    // 000000008614: BF800000
	v_cndmask_b32_e64 v40, v28, v40, s[36:37]                  // 000000008618: D1000028 0092511C
	v_cmp_le_u32_e64 s[36:37], v21, v27                        // 000000008620: D0CB0024 00023715
	v_add_u32_e32 v21, 16, v21                                 // 000000008628: 682A2A90
	s_nop 0                                                    // 00000000862C: BF800000
	v_cndmask_b32_e64 v41, v28, v41, s[36:37]                  // 000000008630: D1000029 0092531C
	v_cmp_le_u32_e64 s[36:37], v22, v27                        // 000000008638: D0CB0024 00023716
	v_add_u32_e32 v22, 16, v22                                 // 000000008640: 682C2C90
	s_nop 0                                                    // 000000008644: BF800000
	v_cndmask_b32_e64 v42, v28, v42, s[36:37]                  // 000000008648: D100002A 0092551C
	v_cmp_le_u32_e64 s[36:37], v23, v27                        // 000000008650: D0CB0024 00023717
	v_add_u32_e32 v23, 16, v23                                 // 000000008658: 682E2E90
	s_nop 0                                                    // 00000000865C: BF800000
	v_cndmask_b32_e64 v43, v28, v43, s[36:37]                  // 000000008660: D100002B 0092571C
	v_cmp_le_u32_e64 s[36:37], v20, v27                        // 000000008668: D0CB0024 00023714
	v_add_u32_e32 v20, 16, v20                                 // 000000008670: 68282890
	s_nop 0                                                    // 000000008674: BF800000
	v_cndmask_b32_e64 v44, v28, v44, s[36:37]                  // 000000008678: D100002C 0092591C
	v_cmp_le_u32_e64 s[36:37], v21, v27                        // 000000008680: D0CB0024 00023715
	v_add_u32_e32 v21, 16, v21                                 // 000000008688: 682A2A90
	s_nop 0                                                    // 00000000868C: BF800000
	v_cndmask_b32_e64 v45, v28, v45, s[36:37]                  // 000000008690: D100002D 00925B1C
	v_cmp_le_u32_e64 s[36:37], v22, v27                        // 000000008698: D0CB0024 00023716
	v_add_u32_e32 v22, 16, v22                                 // 0000000086A0: 682C2C90
	s_nop 0                                                    // 0000000086A4: BF800000
	v_cndmask_b32_e64 v46, v28, v46, s[36:37]                  // 0000000086A8: D100002E 00925D1C
	v_cmp_le_u32_e64 s[36:37], v23, v27                        // 0000000086B0: D0CB0024 00023717
	v_add_u32_e32 v23, 16, v23                                 // 0000000086B8: 682E2E90
	s_nop 0                                                    // 0000000086BC: BF800000
	v_cndmask_b32_e64 v47, v28, v47, s[36:37]                  // 0000000086C0: D100002F 00925F1C
	v_cmp_le_u32_e64 s[36:37], v20, v27                        // 0000000086C8: D0CB0024 00023714
	v_add_u32_e32 v20, 16, v20                                 // 0000000086D0: 68282890
	s_nop 0                                                    // 0000000086D4: BF800000
	v_cndmask_b32_e64 v48, v28, v48, s[36:37]                  // 0000000086D8: D1000030 0092611C
	v_cmp_le_u32_e64 s[36:37], v21, v27                        // 0000000086E0: D0CB0024 00023715
	v_add_u32_e32 v21, 16, v21                                 // 0000000086E8: 682A2A90
	s_nop 0                                                    // 0000000086EC: BF800000
	v_cndmask_b32_e64 v49, v28, v49, s[36:37]                  // 0000000086F0: D1000031 0092631C
	v_cmp_le_u32_e64 s[36:37], v22, v27                        // 0000000086F8: D0CB0024 00023716
	v_add_u32_e32 v22, 16, v22                                 // 000000008700: 682C2C90
	s_nop 0                                                    // 000000008704: BF800000
	v_cndmask_b32_e64 v50, v28, v50, s[36:37]                  // 000000008708: D1000032 0092651C
	v_cmp_le_u32_e64 s[36:37], v23, v27                        // 000000008710: D0CB0024 00023717
	v_add_u32_e32 v23, 16, v23                                 // 000000008718: 682E2E90
	s_nop 0                                                    // 00000000871C: BF800000
	v_cndmask_b32_e64 v51, v28, v51, s[36:37]                  // 000000008720: D1000033 0092671C

0000000000008728 <label_6328>:
	s_add_u32 s83, s84, s83                                    // 000000008728: 80535354
	s_nop 2                                                    // 00000000872C: BF800002
	v_mov_b32_e32 v28, v36                                     // 000000008730: 7E380324
	v_max3_f32 v28, v36, v37, v28                              // 000000008734: D1D3001C 04724B24
	v_max3_f32 v28, v38, v39, v28                              // 00000000873C: D1D3001C 04724F26
	v_max3_f32 v28, v40, v41, v28                              // 000000008744: D1D3001C 04725328
	v_max3_f32 v28, v42, v43, v28                              // 00000000874C: D1D3001C 0472572A
	v_max3_f32 v28, v44, v45, v28                              // 000000008754: D1D3001C 04725B2C
	v_max3_f32 v28, v46, v47, v28                              // 00000000875C: D1D3001C 04725F2E
	v_max3_f32 v28, v48, v49, v28                              // 000000008764: D1D3001C 04726330
	v_max3_f32 v28, v50, v51, v28                              // 00000000876C: D1D3001C 04726732
	v_mov_b32_e32 v27, v28                                     // 000000008774: 7E36031C
	v_mov_b32_e32 v28, v28                                     // 000000008778: 7E38031C
	s_nop 1                                                    // 00000000877C: BF800001
	v_permlane16_swap_b32_e32 v27, v28                         // 000000008780: 7E36B31C
	v_mov_b32_e32 v30, v27                                     // 000000008784: 7E3C031B
	v_mov_b32_e32 v29, v28                                     // 000000008788: 7E3A031C
	s_nop 1                                                    // 00000000878C: BF800001
	v_permlane32_swap_b32_e32 v27, v28                         // 000000008790: 7E36B51C
	v_permlane32_swap_b32_e32 v29, v30                         // 000000008794: 7E3AB51E
	v_max3_f32 v28, v27, v28, v28                              // 000000008798: D1D3001C 0472391B
	v_max3_f32 v28, v29, v30, v28                              // 0000000087A0: D1D3001C 04723D1D
	v_mov_b32_e32 v27, 0xff800000                              // 0000000087A8: 7E3602FF FF800000
	v_cmp_eq_u32_e64 s[36:37], v27, v2                         // 0000000087B0: D0CA0024 0002051B
	v_max_f32_e32 v28, v28, v2                                 // 0000000087B8: 1638051C
	v_sub_f32_e32 v18, v2, v28                                 // 0000000087BC: 04243902
	v_cndmask_b32_e64 v18, v18, 0, s[36:37]                    // 0000000087C0: D1000012 00910112
	v_mov_b32_e32 v2, v28                                      // 0000000087C8: 7E04031C
	v_mul_f32_e32 v28, s5, v28                                 // 0000000087CC: 0A383805
	v_mul_f32_e32 v18, s5, v18                                 // 0000000087D0: 0A242405
	v_exp_f32_e32 v18, v18                                     // 0000000087D4: 7E244112
	v_fma_f32 v36, v36, s5, -v28                               // 0000000087D8: D1CB0024 84700B24
	v_fma_f32 v37, v37, s5, -v28                               // 0000000087E0: D1CB0025 84700B25
	v_fma_f32 v38, v38, s5, -v28                               // 0000000087E8: D1CB0026 84700B26
	v_fma_f32 v39, v39, s5, -v28                               // 0000000087F0: D1CB0027 84700B27
	v_fma_f32 v40, v40, s5, -v28                               // 0000000087F8: D1CB0028 84700B28
	v_fma_f32 v41, v41, s5, -v28                               // 000000008800: D1CB0029 84700B29
	v_fma_f32 v42, v42, s5, -v28                               // 000000008808: D1CB002A 84700B2A
	v_fma_f32 v43, v43, s5, -v28                               // 000000008810: D1CB002B 84700B2B
	v_fma_f32 v44, v44, s5, -v28                               // 000000008818: D1CB002C 84700B2C
	v_fma_f32 v45, v45, s5, -v28                               // 000000008820: D1CB002D 84700B2D
	v_fma_f32 v46, v46, s5, -v28                               // 000000008828: D1CB002E 84700B2E
	v_fma_f32 v47, v47, s5, -v28                               // 000000008830: D1CB002F 84700B2F
	v_fma_f32 v48, v48, s5, -v28                               // 000000008838: D1CB0030 84700B30
	v_fma_f32 v49, v49, s5, -v28                               // 000000008840: D1CB0031 84700B31
	v_fma_f32 v50, v50, s5, -v28                               // 000000008848: D1CB0032 84700B32
	v_fma_f32 v51, v51, s5, -v28                               // 000000008850: D1CB0033 84700B33
	v_exp_f32_e32 v36, v36                                     // 000000008858: 7E484124
	v_exp_f32_e32 v37, v37                                     // 00000000885C: 7E4A4125
	v_exp_f32_e32 v38, v38                                     // 000000008860: 7E4C4126
	v_exp_f32_e32 v39, v39                                     // 000000008864: 7E4E4127
	v_exp_f32_e32 v40, v40                                     // 000000008868: 7E504128
	v_exp_f32_e32 v41, v41                                     // 00000000886C: 7E524129
	v_exp_f32_e32 v42, v42                                     // 000000008870: 7E54412A
	v_exp_f32_e32 v43, v43                                     // 000000008874: 7E56412B
	v_exp_f32_e32 v44, v44                                     // 000000008878: 7E58412C
	v_exp_f32_e32 v45, v45                                     // 00000000887C: 7E5A412D
	v_exp_f32_e32 v46, v46                                     // 000000008880: 7E5C412E
	v_exp_f32_e32 v47, v47                                     // 000000008884: 7E5E412F
	v_exp_f32_e32 v48, v48                                     // 000000008888: 7E604130
	v_exp_f32_e32 v49, v49                                     // 00000000888C: 7E624131
	v_exp_f32_e32 v50, v50                                     // 000000008890: 7E644132
	v_exp_f32_e32 v51, v51                                     // 000000008894: 7E664133
	v_mul_f32_e32 v4, v18, v4                                  // 000000008898: 0A080912
	v_mov_b32_e32 v27, v36                                     // 00000000889C: 7E360324
	v_add_f32_e32 v27, v37, v27                                // 0000000088A0: 02363725
	v_add_f32_e32 v27, v38, v27                                // 0000000088A4: 02363726
	v_add_f32_e32 v27, v39, v27                                // 0000000088A8: 02363727
	v_add_f32_e32 v27, v40, v27                                // 0000000088AC: 02363728
	v_add_f32_e32 v27, v41, v27                                // 0000000088B0: 02363729
	v_add_f32_e32 v27, v42, v27                                // 0000000088B4: 0236372A
	v_add_f32_e32 v27, v43, v27                                // 0000000088B8: 0236372B
	v_add_f32_e32 v27, v44, v27                                // 0000000088BC: 0236372C
	v_add_f32_e32 v27, v45, v27                                // 0000000088C0: 0236372D
	v_add_f32_e32 v27, v46, v27                                // 0000000088C4: 0236372E
	v_add_f32_e32 v27, v47, v27                                // 0000000088C8: 0236372F
	v_add_f32_e32 v27, v48, v27                                // 0000000088CC: 02363730
	v_add_f32_e32 v27, v49, v27                                // 0000000088D0: 02363731
	v_add_f32_e32 v27, v50, v27                                // 0000000088D4: 02363732
	v_add_f32_e32 v27, v51, v27                                // 0000000088D8: 02363733
	v_add_f32_e32 v4, v27, v4                                  // 0000000088DC: 0208091B
	v_cvt_pk_fp8_f32 v36, v36, v37                             // 0000000088E0: D2A20024 00024B24
	v_cvt_pk_fp8_f32 v36, v38, v39 op_sel:[0,0,1]              // 0000000088E8: D2A24024 00024F26
	v_cvt_pk_fp8_f32 v37, v40, v41                             // 0000000088F0: D2A20025 00025328
	v_cvt_pk_fp8_f32 v37, v42, v43 op_sel:[0,0,1]              // 0000000088F8: D2A24025 0002572A
	v_cvt_pk_fp8_f32 v38, v44, v45                             // 000000008900: D2A20026 00025B2C
	v_cvt_pk_fp8_f32 v38, v46, v47 op_sel:[0,0,1]              // 000000008908: D2A24026 00025F2E
	v_cvt_pk_fp8_f32 v39, v48, v49                             // 000000008910: D2A20027 00026330
	v_cvt_pk_fp8_f32 v39, v50, v51 op_sel:[0,0,1]              // 000000008918: D2A24027 00026732
	s_nop 0                                                    // 000000008920: BF800000
	v_permlane16_swap_b32_e32 v36, v37                         // 000000008924: 7E48B325
	v_permlane16_swap_b32_e32 v38, v39                         // 000000008928: 7E4CB327
	s_nop 0                                                    // 00000000892C: BF800000
	v_permlane32_swap_b32_e32 v36, v38                         // 000000008930: 7E48B526
	v_permlane32_swap_b32_e32 v37, v39                         // 000000008934: 7E4AB527
	ds_write_b128 v32, v[36:39]                                // 000000008938: D9BE0000 00002420
	s_waitcnt lgkmcnt(0)                                       // 000000008940: BF8CC07F
	s_barrier                                                  // 000000008944: BF8A0000
	ds_read_b128 v[36:39], v33                                 // 000000008948: D9FE0000 24000021
	ds_read_b128 v[40:43], v33 offset:1024                     // 000000008950: D9FE0400 28000021
	s_waitcnt lgkmcnt(0)                                       // 000000008958: BF8CC07F
	v_permlane16_swap_b32_e32 v36, v40                         // 00000000895C: 7E48B328
	v_permlane16_swap_b32_e32 v37, v41                         // 000000008960: 7E4AB329
	v_permlane16_swap_b32_e32 v38, v42                         // 000000008964: 7E4CB32A
	v_permlane16_swap_b32_e32 v39, v43                         // 000000008968: 7E4EB32B
	v_permlane32_swap_b32_e32 v36, v40                         // 00000000896C: 7E48B528
	v_permlane32_swap_b32_e32 v37, v41                         // 000000008970: 7E4AB529
	v_permlane32_swap_b32_e32 v38, v42                         // 000000008974: 7E4CB52A
	v_permlane32_swap_b32_e32 v39, v43                         // 000000008978: 7E4EB52B
	ds_write_b32 v34, v18                                      // 00000000897C: D81A0000 00001222
	s_waitcnt lgkmcnt(0)                                       // 000000008984: BF8CC07F
	s_barrier                                                  // 000000008988: BF8A0000
	ds_read_b32 v27, v35                                       // 00000000898C: D86C0000 1B000023
	s_waitcnt lgkmcnt(0)                                       // 000000008994: BF8CC07F
	v_mul_f32_e32 v52, v27, v52                                // 000000008998: 0A68691B
	v_mul_f32_e32 v53, v27, v53                                // 00000000899C: 0A6A6B1B
	v_mul_f32_e32 v54, v27, v54                                // 0000000089A0: 0A6C6D1B
	v_mul_f32_e32 v55, v27, v55                                // 0000000089A4: 0A6E6F1B
	v_mul_f32_e32 v56, v27, v56                                // 0000000089A8: 0A70711B
	v_mul_f32_e32 v57, v27, v57                                // 0000000089AC: 0A72731B
	v_mul_f32_e32 v58, v27, v58                                // 0000000089B0: 0A74751B
	v_mul_f32_e32 v59, v27, v59                                // 0000000089B4: 0A76771B
	v_mul_f32_e32 v60, v27, v60                                // 0000000089B8: 0A78791B
	v_mul_f32_e32 v61, v27, v61                                // 0000000089BC: 0A7A7B1B
	v_mul_f32_e32 v62, v27, v62                                // 0000000089C0: 0A7C7D1B
	v_mul_f32_e32 v63, v27, v63                                // 0000000089C4: 0A7E7F1B
	v_mul_f32_e32 v64, v27, v64                                // 0000000089C8: 0A80811B
	v_mul_f32_e32 v65, v27, v65                                // 0000000089CC: 0A82831B
	v_mul_f32_e32 v66, v27, v66                                // 0000000089D0: 0A84851B
	v_mul_f32_e32 v67, v27, v67                                // 0000000089D4: 0A86871B
	v_mul_f32_e32 v68, v27, v68                                // 0000000089D8: 0A88891B
	v_mul_f32_e32 v69, v27, v69                                // 0000000089DC: 0A8A8B1B
	v_mul_f32_e32 v70, v27, v70                                // 0000000089E0: 0A8C8D1B
	v_mul_f32_e32 v71, v27, v71                                // 0000000089E4: 0A8E8F1B
	v_mul_f32_e32 v72, v27, v72                                // 0000000089E8: 0A90911B
	v_mul_f32_e32 v73, v27, v73                                // 0000000089EC: 0A92931B
	v_mul_f32_e32 v74, v27, v74                                // 0000000089F0: 0A94951B
	v_mul_f32_e32 v75, v27, v75                                // 0000000089F4: 0A96971B
	v_mul_f32_e32 v76, v27, v76                                // 0000000089F8: 0A98991B
	v_mul_f32_e32 v77, v27, v77                                // 0000000089FC: 0A9A9B1B
	v_mul_f32_e32 v78, v27, v78                                // 000000008A00: 0A9C9D1B
	v_mul_f32_e32 v79, v27, v79                                // 000000008A04: 0A9E9F1B
	v_mul_f32_e32 v80, v27, v80                                // 000000008A08: 0AA0A11B
	v_mul_f32_e32 v81, v27, v81                                // 000000008A0C: 0AA2A31B
	v_mul_f32_e32 v82, v27, v82                                // 000000008A10: 0AA4A51B
	v_mul_f32_e32 v83, v27, v83                                // 000000008A14: 0AA6A71B
	v_mul_f32_e32 v84, v27, v84                                // 000000008A18: 0AA8A91B
	v_mul_f32_e32 v85, v27, v85                                // 000000008A1C: 0AAAAB1B
	v_mul_f32_e32 v86, v27, v86                                // 000000008A20: 0AACAD1B
	v_mul_f32_e32 v87, v27, v87                                // 000000008A24: 0AAEAF1B
	v_mul_f32_e32 v88, v27, v88                                // 000000008A28: 0AB0B11B
	v_mul_f32_e32 v89, v27, v89                                // 000000008A2C: 0AB2B31B
	v_mul_f32_e32 v90, v27, v90                                // 000000008A30: 0AB4B51B
	v_mul_f32_e32 v91, v27, v91                                // 000000008A34: 0AB6B71B
	v_mul_f32_e32 v92, v27, v92                                // 000000008A38: 0AB8B91B
	v_mul_f32_e32 v93, v27, v93                                // 000000008A3C: 0ABABB1B
	v_mul_f32_e32 v94, v27, v94                                // 000000008A40: 0ABCBD1B
	v_mul_f32_e32 v95, v27, v95                                // 000000008A44: 0ABEBF1B
	v_mul_f32_e32 v96, v27, v96                                // 000000008A48: 0AC0C11B
	v_mul_f32_e32 v97, v27, v97                                // 000000008A4C: 0AC2C31B
	v_mul_f32_e32 v98, v27, v98                                // 000000008A50: 0AC4C51B
	v_mul_f32_e32 v99, v27, v99                                // 000000008A54: 0AC6C71B
	v_mul_f32_e32 v100, v27, v100                              // 000000008A58: 0AC8C91B
	v_mul_f32_e32 v101, v27, v101                              // 000000008A5C: 0ACACB1B
	v_mul_f32_e32 v102, v27, v102                              // 000000008A60: 0ACCCD1B
	v_mul_f32_e32 v103, v27, v103                              // 000000008A64: 0ACECF1B
	v_mul_f32_e32 v104, v27, v104                              // 000000008A68: 0AD0D11B
	v_mul_f32_e32 v105, v27, v105                              // 000000008A6C: 0AD2D31B
	v_mul_f32_e32 v106, v27, v106                              // 000000008A70: 0AD4D51B
	v_mul_f32_e32 v107, v27, v107                              // 000000008A74: 0AD6D71B
	v_mul_f32_e32 v108, v27, v108                              // 000000008A78: 0AD8D91B
	v_mul_f32_e32 v109, v27, v109                              // 000000008A7C: 0ADADB1B
	v_mul_f32_e32 v110, v27, v110                              // 000000008A80: 0ADCDD1B
	v_mul_f32_e32 v111, v27, v111                              // 000000008A84: 0ADEDF1B
	v_mul_f32_e32 v112, v27, v112                              // 000000008A88: 0AE0E11B
	v_mul_f32_e32 v113, v27, v113                              // 000000008A8C: 0AE2E31B
	v_mul_f32_e32 v114, v27, v114                              // 000000008A90: 0AE4E51B
	v_mul_f32_e32 v115, v27, v115                              // 000000008A94: 0AE6E71B
	v_mul_f32_e32 v116, v27, v116                              // 000000008A98: 0AE8E91B
	v_mul_f32_e32 v117, v27, v117                              // 000000008A9C: 0AEAEB1B
	v_mul_f32_e32 v118, v27, v118                              // 000000008AA0: 0AECED1B
	v_mul_f32_e32 v119, v27, v119                              // 000000008AA4: 0AEEEF1B
	v_mul_f32_e32 v120, v27, v120                              // 000000008AA8: 0AF0F11B
	v_mul_f32_e32 v121, v27, v121                              // 000000008AAC: 0AF2F31B
	v_mul_f32_e32 v122, v27, v122                              // 000000008AB0: 0AF4F51B
	v_mul_f32_e32 v123, v27, v123                              // 000000008AB4: 0AF6F71B
	v_mul_f32_e32 v124, v27, v124                              // 000000008AB8: 0AF8F91B
	v_mul_f32_e32 v125, v27, v125                              // 000000008ABC: 0AFAFB1B
	v_mul_f32_e32 v126, v27, v126                              // 000000008AC0: 0AFCFD1B
	v_mul_f32_e32 v127, v27, v127                              // 000000008AC4: 0AFEFF1B
	v_mul_f32_e32 v128, v27, v128                              // 000000008AC8: 0B01011B
	v_mul_f32_e32 v129, v27, v129                              // 000000008ACC: 0B03031B
	v_mul_f32_e32 v130, v27, v130                              // 000000008AD0: 0B05051B
	v_mul_f32_e32 v131, v27, v131                              // 000000008AD4: 0B07071B
	v_mul_f32_e32 v132, v27, v132                              // 000000008AD8: 0B09091B
	v_mul_f32_e32 v133, v27, v133                              // 000000008ADC: 0B0B0B1B
	v_mul_f32_e32 v134, v27, v134                              // 000000008AE0: 0B0D0D1B
	v_mul_f32_e32 v135, v27, v135                              // 000000008AE4: 0B0F0F1B
	v_mul_f32_e32 v136, v27, v136                              // 000000008AE8: 0B11111B
	v_mul_f32_e32 v137, v27, v137                              // 000000008AEC: 0B13131B
	v_mul_f32_e32 v138, v27, v138                              // 000000008AF0: 0B15151B
	v_mul_f32_e32 v139, v27, v139                              // 000000008AF4: 0B17171B
	v_mul_f32_e32 v140, v27, v140                              // 000000008AF8: 0B19191B
	v_mul_f32_e32 v141, v27, v141                              // 000000008AFC: 0B1B1B1B
	v_mul_f32_e32 v142, v27, v142                              // 000000008B00: 0B1D1D1B
	v_mul_f32_e32 v143, v27, v143                              // 000000008B04: 0B1F1F1B
	v_mul_f32_e32 v144, v27, v144                              // 000000008B08: 0B21211B
	v_mul_f32_e32 v145, v27, v145                              // 000000008B0C: 0B23231B
	v_mul_f32_e32 v146, v27, v146                              // 000000008B10: 0B25251B
	v_mul_f32_e32 v147, v27, v147                              // 000000008B14: 0B27271B
	v_mul_f32_e32 v148, v27, v148                              // 000000008B18: 0B29291B
	v_mul_f32_e32 v149, v27, v149                              // 000000008B1C: 0B2B2B1B
	v_mul_f32_e32 v150, v27, v150                              // 000000008B20: 0B2D2D1B
	v_mul_f32_e32 v151, v27, v151                              // 000000008B24: 0B2F2F1B
	v_mul_f32_e32 v152, v27, v152                              // 000000008B28: 0B31311B
	v_mul_f32_e32 v153, v27, v153                              // 000000008B2C: 0B33331B
	v_mul_f32_e32 v154, v27, v154                              // 000000008B30: 0B35351B
	v_mul_f32_e32 v155, v27, v155                              // 000000008B34: 0B37371B
	v_mul_f32_e32 v156, v27, v156                              // 000000008B38: 0B39391B
	v_mul_f32_e32 v157, v27, v157                              // 000000008B3C: 0B3B3B1B
	v_mul_f32_e32 v158, v27, v158                              // 000000008B40: 0B3D3D1B
	v_mul_f32_e32 v159, v27, v159                              // 000000008B44: 0B3F3F1B
	v_mul_f32_e32 v160, v27, v160                              // 000000008B48: 0B41411B
	v_mul_f32_e32 v161, v27, v161                              // 000000008B4C: 0B43431B
	v_mul_f32_e32 v162, v27, v162                              // 000000008B50: 0B45451B
	v_mul_f32_e32 v163, v27, v163                              // 000000008B54: 0B47471B
	v_mul_f32_e32 v164, v27, v164                              // 000000008B58: 0B49491B
	v_mul_f32_e32 v165, v27, v165                              // 000000008B5C: 0B4B4B1B
	v_mul_f32_e32 v166, v27, v166                              // 000000008B60: 0B4D4D1B
	v_mul_f32_e32 v167, v27, v167                              // 000000008B64: 0B4F4F1B
	v_mul_f32_e32 v168, v27, v168                              // 000000008B68: 0B51511B
	v_mul_f32_e32 v169, v27, v169                              // 000000008B6C: 0B53531B
	v_mul_f32_e32 v170, v27, v170                              // 000000008B70: 0B55551B
	v_mul_f32_e32 v171, v27, v171                              // 000000008B74: 0B57571B
	v_mul_f32_e32 v172, v27, v172                              // 000000008B78: 0B59591B
	v_mul_f32_e32 v173, v27, v173                              // 000000008B7C: 0B5B5B1B
	v_mul_f32_e32 v174, v27, v174                              // 000000008B80: 0B5D5D1B
	v_mul_f32_e32 v175, v27, v175                              // 000000008B84: 0B5F5F1B
	v_mul_f32_e32 v176, v27, v176                              // 000000008B88: 0B61611B
	v_mul_f32_e32 v177, v27, v177                              // 000000008B8C: 0B63631B
	v_mul_f32_e32 v178, v27, v178                              // 000000008B90: 0B65651B
	v_mul_f32_e32 v179, v27, v179                              // 000000008B94: 0B67671B
	v_mfma_f32_32x32x64_f8f6f4 v[52:67], a[120:127], v[36:43], v[52:67]// 000000008B98: D3AE0034 0CD24978
	v_mfma_f32_32x32x64_f8f6f4 v[68:83], a[128:135], v[36:43], v[68:83]// 000000008BA0: D3AE0044 0D124980
	v_mfma_f32_32x32x64_f8f6f4 v[84:99], a[136:143], v[36:43], v[84:99]// 000000008BA8: D3AE0054 0D524988
	v_mfma_f32_32x32x64_f8f6f4 v[100:115], a[144:151], v[36:43], v[100:115]// 000000008BB0: D3AE0064 0D924990
	v_mfma_f32_32x32x64_f8f6f4 v[116:131], a[152:159], v[36:43], v[116:131]// 000000008BB8: D3AE0074 0DD24998
	v_mfma_f32_32x32x64_f8f6f4 v[132:147], a[160:167], v[36:43], v[132:147]// 000000008BC0: D3AE0084 0E1249A0
	v_mfma_f32_32x32x64_f8f6f4 v[148:163], a[168:175], v[36:43], v[148:163]// 000000008BC8: D3AE0094 0E5249A8
	v_mfma_f32_32x32x64_f8f6f4 v[164:179], a[176:183], v[36:43], v[164:179]// 000000008BD0: D3AE00A4 0E9249B0
	s_waitcnt lgkmcnt(0)                                       // 000000008BD8: BF8CC07F
	s_nop 8                                                    // 000000008BDC: BF800008
	s_branch label_69EC                                        // 000000008BE0: BF820000

0000000000008be4 <label_69EC>:
	v_mov_b32_e32 v27, v4                                      // 000000008BE4: 7E360304
	v_mov_b32_e32 v28, v4                                      // 000000008BE8: 7E380304
	s_nop 1                                                    // 000000008BEC: BF800001
	v_permlane16_swap_b32_e32 v27, v28                         // 000000008BF0: 7E36B31C
	v_mov_b32_e32 v30, v27                                     // 000000008BF4: 7E3C031B
	v_mov_b32_e32 v29, v28                                     // 000000008BF8: 7E3A031C
	s_nop 1                                                    // 000000008BFC: BF800001
	v_permlane32_swap_b32_e32 v27, v28                         // 000000008C00: 7E36B51C
	v_permlane32_swap_b32_e32 v29, v30                         // 000000008C04: 7E3AB51E
	v_mov_b32_e32 v4, 0                                        // 000000008C08: 7E080280
	v_add_f32_e32 v4, v27, v4                                  // 000000008C0C: 0208091B
	v_add_f32_e32 v4, v28, v4                                  // 000000008C10: 0208091C
	v_add_f32_e32 v4, v29, v4                                  // 000000008C14: 0208091D
	v_add_f32_e32 v4, v30, v4                                  // 000000008C18: 0208091E
	v_mov_b32_e32 v27, 0                                       // 000000008C1C: 7E360280
	v_cmp_eq_u32_e64 s[36:37], v27, v4                         // 000000008C20: D0CA0024 0002091B
	v_mul_f32_e64 v27, v2, s64                                 // 000000008C28: D105001B 00008102
	v_log_f32_e32 v28, v4                                      // 000000008C30: 7E384304
	s_nop 1                                                    // 000000008C34: BF800001
	v_rcp_f32_e32 v4, v4                                       // 000000008C38: 7E084504
	s_nop 1                                                    // 000000008C3C: BF800001
	v_fma_f32 v1, v28, s63, v27                                // 000000008C40: D1CB0001 046C7F1C
	ds_write_b32 v34, v4                                       // 000000008C48: D81A0000 00000422
	s_waitcnt lgkmcnt(0)                                       // 000000008C50: BF8CC07F
	s_barrier                                                  // 000000008C54: BF8A0000
	ds_read_b32 v4, v35                                        // 000000008C58: D86C0000 04000023
	s_waitcnt lgkmcnt(0)                                       // 000000008C60: BF8CC07F
	v_mul_f32_e32 v4, s61, v4                                  // 000000008C64: 0A08083D
	v_mul_f32_e32 v52, v4, v52                                 // 000000008C68: 0A686904
	v_mul_f32_e32 v53, v4, v53                                 // 000000008C6C: 0A6A6B04
	v_mul_f32_e32 v54, v4, v54                                 // 000000008C70: 0A6C6D04
	v_mul_f32_e32 v55, v4, v55                                 // 000000008C74: 0A6E6F04
	v_mul_f32_e32 v56, v4, v56                                 // 000000008C78: 0A707104
	v_mul_f32_e32 v57, v4, v57                                 // 000000008C7C: 0A727304
	v_mul_f32_e32 v58, v4, v58                                 // 000000008C80: 0A747504
	v_mul_f32_e32 v59, v4, v59                                 // 000000008C84: 0A767704
	v_mul_f32_e32 v60, v4, v60                                 // 000000008C88: 0A787904
	v_mul_f32_e32 v61, v4, v61                                 // 000000008C8C: 0A7A7B04
	v_mul_f32_e32 v62, v4, v62                                 // 000000008C90: 0A7C7D04
	v_mul_f32_e32 v63, v4, v63                                 // 000000008C94: 0A7E7F04
	v_mul_f32_e32 v64, v4, v64                                 // 000000008C98: 0A808104
	v_mul_f32_e32 v65, v4, v65                                 // 000000008C9C: 0A828304
	v_mul_f32_e32 v66, v4, v66                                 // 000000008CA0: 0A848504
	v_mul_f32_e32 v67, v4, v67                                 // 000000008CA4: 0A868704
	v_mul_f32_e32 v68, v4, v68                                 // 000000008CA8: 0A888904
	v_mul_f32_e32 v69, v4, v69                                 // 000000008CAC: 0A8A8B04
	v_mul_f32_e32 v70, v4, v70                                 // 000000008CB0: 0A8C8D04
	v_mul_f32_e32 v71, v4, v71                                 // 000000008CB4: 0A8E8F04
	v_mul_f32_e32 v72, v4, v72                                 // 000000008CB8: 0A909104
	v_mul_f32_e32 v73, v4, v73                                 // 000000008CBC: 0A929304
	v_mul_f32_e32 v74, v4, v74                                 // 000000008CC0: 0A949504
	v_mul_f32_e32 v75, v4, v75                                 // 000000008CC4: 0A969704
	v_mul_f32_e32 v76, v4, v76                                 // 000000008CC8: 0A989904
	v_mul_f32_e32 v77, v4, v77                                 // 000000008CCC: 0A9A9B04
	v_mul_f32_e32 v78, v4, v78                                 // 000000008CD0: 0A9C9D04
	v_mul_f32_e32 v79, v4, v79                                 // 000000008CD4: 0A9E9F04
	v_mul_f32_e32 v80, v4, v80                                 // 000000008CD8: 0AA0A104
	v_mul_f32_e32 v81, v4, v81                                 // 000000008CDC: 0AA2A304
	v_mul_f32_e32 v82, v4, v82                                 // 000000008CE0: 0AA4A504
	v_mul_f32_e32 v83, v4, v83                                 // 000000008CE4: 0AA6A704
	v_mul_f32_e32 v84, v4, v84                                 // 000000008CE8: 0AA8A904
	v_mul_f32_e32 v85, v4, v85                                 // 000000008CEC: 0AAAAB04
	v_mul_f32_e32 v86, v4, v86                                 // 000000008CF0: 0AACAD04
	v_mul_f32_e32 v87, v4, v87                                 // 000000008CF4: 0AAEAF04
	v_mul_f32_e32 v88, v4, v88                                 // 000000008CF8: 0AB0B104
	v_mul_f32_e32 v89, v4, v89                                 // 000000008CFC: 0AB2B304
	v_mul_f32_e32 v90, v4, v90                                 // 000000008D00: 0AB4B504
	v_mul_f32_e32 v91, v4, v91                                 // 000000008D04: 0AB6B704
	v_mul_f32_e32 v92, v4, v92                                 // 000000008D08: 0AB8B904
	v_mul_f32_e32 v93, v4, v93                                 // 000000008D0C: 0ABABB04
	v_mul_f32_e32 v94, v4, v94                                 // 000000008D10: 0ABCBD04
	v_mul_f32_e32 v95, v4, v95                                 // 000000008D14: 0ABEBF04
	v_mul_f32_e32 v96, v4, v96                                 // 000000008D18: 0AC0C104
	v_mul_f32_e32 v97, v4, v97                                 // 000000008D1C: 0AC2C304
	v_mul_f32_e32 v98, v4, v98                                 // 000000008D20: 0AC4C504
	v_mul_f32_e32 v99, v4, v99                                 // 000000008D24: 0AC6C704
	v_mul_f32_e32 v100, v4, v100                               // 000000008D28: 0AC8C904
	v_mul_f32_e32 v101, v4, v101                               // 000000008D2C: 0ACACB04
	v_mul_f32_e32 v102, v4, v102                               // 000000008D30: 0ACCCD04
	v_mul_f32_e32 v103, v4, v103                               // 000000008D34: 0ACECF04
	v_mul_f32_e32 v104, v4, v104                               // 000000008D38: 0AD0D104
	v_mul_f32_e32 v105, v4, v105                               // 000000008D3C: 0AD2D304
	v_mul_f32_e32 v106, v4, v106                               // 000000008D40: 0AD4D504
	v_mul_f32_e32 v107, v4, v107                               // 000000008D44: 0AD6D704
	v_mul_f32_e32 v108, v4, v108                               // 000000008D48: 0AD8D904
	v_mul_f32_e32 v109, v4, v109                               // 000000008D4C: 0ADADB04
	v_mul_f32_e32 v110, v4, v110                               // 000000008D50: 0ADCDD04
	v_mul_f32_e32 v111, v4, v111                               // 000000008D54: 0ADEDF04
	v_mul_f32_e32 v112, v4, v112                               // 000000008D58: 0AE0E104
	v_mul_f32_e32 v113, v4, v113                               // 000000008D5C: 0AE2E304
	v_mul_f32_e32 v114, v4, v114                               // 000000008D60: 0AE4E504
	v_mul_f32_e32 v115, v4, v115                               // 000000008D64: 0AE6E704
	v_mul_f32_e32 v116, v4, v116                               // 000000008D68: 0AE8E904
	v_mul_f32_e32 v117, v4, v117                               // 000000008D6C: 0AEAEB04
	v_mul_f32_e32 v118, v4, v118                               // 000000008D70: 0AECED04
	v_mul_f32_e32 v119, v4, v119                               // 000000008D74: 0AEEEF04
	v_mul_f32_e32 v120, v4, v120                               // 000000008D78: 0AF0F104
	v_mul_f32_e32 v121, v4, v121                               // 000000008D7C: 0AF2F304
	v_mul_f32_e32 v122, v4, v122                               // 000000008D80: 0AF4F504
	v_mul_f32_e32 v123, v4, v123                               // 000000008D84: 0AF6F704
	v_mul_f32_e32 v124, v4, v124                               // 000000008D88: 0AF8F904
	v_mul_f32_e32 v125, v4, v125                               // 000000008D8C: 0AFAFB04
	v_mul_f32_e32 v126, v4, v126                               // 000000008D90: 0AFCFD04
	v_mul_f32_e32 v127, v4, v127                               // 000000008D94: 0AFEFF04
	v_mul_f32_e32 v128, v4, v128                               // 000000008D98: 0B010104
	v_mul_f32_e32 v129, v4, v129                               // 000000008D9C: 0B030304
	v_mul_f32_e32 v130, v4, v130                               // 000000008DA0: 0B050504
	v_mul_f32_e32 v131, v4, v131                               // 000000008DA4: 0B070704
	v_mul_f32_e32 v132, v4, v132                               // 000000008DA8: 0B090904
	v_mul_f32_e32 v133, v4, v133                               // 000000008DAC: 0B0B0B04
	v_mul_f32_e32 v134, v4, v134                               // 000000008DB0: 0B0D0D04
	v_mul_f32_e32 v135, v4, v135                               // 000000008DB4: 0B0F0F04
	v_mul_f32_e32 v136, v4, v136                               // 000000008DB8: 0B111104
	v_mul_f32_e32 v137, v4, v137                               // 000000008DBC: 0B131304
	v_mul_f32_e32 v138, v4, v138                               // 000000008DC0: 0B151504
	v_mul_f32_e32 v139, v4, v139                               // 000000008DC4: 0B171704
	v_mul_f32_e32 v140, v4, v140                               // 000000008DC8: 0B191904
	v_mul_f32_e32 v141, v4, v141                               // 000000008DCC: 0B1B1B04
	v_mul_f32_e32 v142, v4, v142                               // 000000008DD0: 0B1D1D04
	v_mul_f32_e32 v143, v4, v143                               // 000000008DD4: 0B1F1F04
	v_mul_f32_e32 v144, v4, v144                               // 000000008DD8: 0B212104
	v_mul_f32_e32 v145, v4, v145                               // 000000008DDC: 0B232304
	v_mul_f32_e32 v146, v4, v146                               // 000000008DE0: 0B252504
	v_mul_f32_e32 v147, v4, v147                               // 000000008DE4: 0B272704
	v_mul_f32_e32 v148, v4, v148                               // 000000008DE8: 0B292904
	v_mul_f32_e32 v149, v4, v149                               // 000000008DEC: 0B2B2B04
	v_mul_f32_e32 v150, v4, v150                               // 000000008DF0: 0B2D2D04
	v_mul_f32_e32 v151, v4, v151                               // 000000008DF4: 0B2F2F04
	v_mul_f32_e32 v152, v4, v152                               // 000000008DF8: 0B313104
	v_mul_f32_e32 v153, v4, v153                               // 000000008DFC: 0B333304
	v_mul_f32_e32 v154, v4, v154                               // 000000008E00: 0B353504
	v_mul_f32_e32 v155, v4, v155                               // 000000008E04: 0B373704
	v_mul_f32_e32 v156, v4, v156                               // 000000008E08: 0B393904
	v_mul_f32_e32 v157, v4, v157                               // 000000008E0C: 0B3B3B04
	v_mul_f32_e32 v158, v4, v158                               // 000000008E10: 0B3D3D04
	v_mul_f32_e32 v159, v4, v159                               // 000000008E14: 0B3F3F04
	v_mul_f32_e32 v160, v4, v160                               // 000000008E18: 0B414104
	v_mul_f32_e32 v161, v4, v161                               // 000000008E1C: 0B434304
	v_mul_f32_e32 v162, v4, v162                               // 000000008E20: 0B454504
	v_mul_f32_e32 v163, v4, v163                               // 000000008E24: 0B474704
	v_mul_f32_e32 v164, v4, v164                               // 000000008E28: 0B494904
	v_mul_f32_e32 v165, v4, v165                               // 000000008E2C: 0B4B4B04
	v_mul_f32_e32 v166, v4, v166                               // 000000008E30: 0B4D4D04
	v_mul_f32_e32 v167, v4, v167                               // 000000008E34: 0B4F4F04
	v_mul_f32_e32 v168, v4, v168                               // 000000008E38: 0B515104
	v_mul_f32_e32 v169, v4, v169                               // 000000008E3C: 0B535304
	v_mul_f32_e32 v170, v4, v170                               // 000000008E40: 0B555504
	v_mul_f32_e32 v171, v4, v171                               // 000000008E44: 0B575704
	v_mul_f32_e32 v172, v4, v172                               // 000000008E48: 0B595904
	v_mul_f32_e32 v173, v4, v173                               // 000000008E4C: 0B5B5B04
	v_mul_f32_e32 v174, v4, v174                               // 000000008E50: 0B5D5D04
	v_mul_f32_e32 v175, v4, v175                               // 000000008E54: 0B5F5F04
	v_mul_f32_e32 v176, v4, v176                               // 000000008E58: 0B616104
	v_mul_f32_e32 v177, v4, v177                               // 000000008E5C: 0B636304
	v_mul_f32_e32 v178, v4, v178                               // 000000008E60: 0B656504
	v_mul_f32_e32 v179, v4, v179                               // 000000008E64: 0B676704
	s_cmp_eq_u32 s62, 1                                        // 000000008E68: BF06813E
	s_cbranch_scc1 label_7398                                  // 000000008E6C: BF8501C8
	s_mul_i32 s75, 0x800, 16                                   // 000000008E70: 924B90FF 00000800
	s_mul_i32 s94, s67, s75                                    // 000000008E78: 925E4B43
	s_mul_i32 s93, s92, s75                                    // 000000008E7C: 925D4B5C
	s_mul_i32 s56, s79, s93                                    // 000000008E80: 92385D4F
	s_mul_i32 s57, s79, s75                                    // 000000008E84: 92394B4F
	s_cmp_eq_u32 s67, 1                                        // 000000008E88: BF068143
	s_cselect_b32 s56, s57, s56                                // 000000008E8C: 85383839
	s_add_u32 s8, s56, s8                                      // 000000008E90: 80080838
	s_addc_u32 s9, 0, s9                                       // 000000008E94: 82090980
	s_mul_i32 s56, s93, s81                                    // 000000008E98: 9238515D
	s_mov_b32 s10, s56                                         // 000000008E9C: BE8A0038
	s_mul_i32 s56, s93, s7                                     // 000000008EA0: 9238075D
	v_lshrrev_b32_e32 v27, 5, v0                               // 000000008EA4: 20360085
	s_mov_b32 s57, 0x800                                       // 000000008EA8: BEB900FF 00000800
	v_mul_i32_i24_e32 v27, s57, v27                            // 000000008EB0: 0C363639
	v_and_b32_e32 v5, 31, v0                                   // 000000008EB4: 260A009F
	v_lshlrev_b32_e32 v5, 4, v5                                // 000000008EB8: 240A0A84
	v_add_u32_e32 v5, v5, v27                                  // 000000008EBC: 680A3705
	v_add_u32_e64 v5, v5, s56                                  // 000000008EC0: D1340005 00007105
	s_mul_i32 s56, s4, s75                                     // 000000008EC8: 92384B04
	v_add_u32_e64 v5, v5, s56                                  // 000000008ECC: D1340005 00007105
	s_mul_i32 s58, 4, 16                                       // 000000008ED4: 923A9084
	s_mul_i32 s77, s67, s58                                    // 000000008ED8: 924D3A43
	s_mul_i32 s57, s92, s58                                    // 000000008EDC: 92393A5C
	s_mul_i32 s56, s79, s57                                    // 000000008EE0: 9238394F
	s_add_u32 s12, s56, s12                                    // 000000008EE4: 800C0C38
	s_addc_u32 s13, 0, s13                                     // 000000008EE8: 820D0D80
	s_mul_i32 s56, s81, s57                                    // 000000008EEC: 92383951
	s_mov_b32 s14, s56                                         // 000000008EF0: BE8E0038
	v_and_b32_e32 v4, 15, v0                                   // 000000008EF4: 2608008F
	v_lshlrev_b32_e32 v4, 2, v4                                // 000000008EF8: 24080882
	s_mul_i32 s56, s4, s58                                     // 000000008EFC: 92383A04
	v_add_u32_e64 v4, v4, s56                                  // 000000008F00: D1340004 00007104
	s_mul_i32 s56, s7, s57                                     // 000000008F08: 92383907
	v_add_u32_e64 v4, v4, s56                                  // 000000008F0C: D1340004 00007104
	v_lshlrev_b32_e32 v2, 4, v0                                // 000000008F14: 24040084
	s_mov_b32 s56, 0x9000                                      // 000000008F18: BEB800FF 00009000
	s_mul_i32 s56, s7, s56                                     // 000000008F20: 92383807
	v_add_u32_e32 v2, s56, v2                                  // 000000008F24: 68040438
	ds_write_b128 v2, v[52:55]                                 // 000000008F28: D9BE0000 00003402
	s_mov_b32 s56, 0x410                                       // 000000008F30: BEB800FF 00000410
	v_add_u32_e32 v2, s56, v2                                  // 000000008F38: 68040438
	ds_write_b128 v2, v[56:59]                                 // 000000008F3C: D9BE0000 00003802
	s_mov_b32 s56, 0x410                                       // 000000008F44: BEB800FF 00000410
	v_add_u32_e32 v2, s56, v2                                  // 000000008F4C: 68040438
	ds_write_b128 v2, v[60:63]                                 // 000000008F50: D9BE0000 00003C02
	s_mov_b32 s56, 0x410                                       // 000000008F58: BEB800FF 00000410
	v_add_u32_e32 v2, s56, v2                                  // 000000008F60: 68040438
	ds_write_b128 v2, v[64:67]                                 // 000000008F64: D9BE0000 00004002
	s_mov_b32 s56, 0x410                                       // 000000008F6C: BEB800FF 00000410
	v_add_u32_e32 v2, s56, v2                                  // 000000008F74: 68040438
	ds_write_b128 v2, v[68:71]                                 // 000000008F78: D9BE0000 00004402
	s_mov_b32 s56, 0x410                                       // 000000008F80: BEB800FF 00000410
	v_add_u32_e32 v2, s56, v2                                  // 000000008F88: 68040438
	ds_write_b128 v2, v[72:75]                                 // 000000008F8C: D9BE0000 00004802
	s_mov_b32 s56, 0x410                                       // 000000008F94: BEB800FF 00000410
	v_add_u32_e32 v2, s56, v2                                  // 000000008F9C: 68040438
	ds_write_b128 v2, v[76:79]                                 // 000000008FA0: D9BE0000 00004C02
	s_mov_b32 s56, 0x410                                       // 000000008FA8: BEB800FF 00000410
	v_add_u32_e32 v2, s56, v2                                  // 000000008FB0: 68040438
	ds_write_b128 v2, v[80:83]                                 // 000000008FB4: D9BE0000 00005002
	s_mov_b32 s56, 0x410                                       // 000000008FBC: BEB800FF 00000410
	v_add_u32_e32 v2, s56, v2                                  // 000000008FC4: 68040438
	ds_write_b128 v2, v[84:87]                                 // 000000008FC8: D9BE0000 00005402
	s_mov_b32 s56, 0x410                                       // 000000008FD0: BEB800FF 00000410
	v_add_u32_e32 v2, s56, v2                                  // 000000008FD8: 68040438
	ds_write_b128 v2, v[88:91]                                 // 000000008FDC: D9BE0000 00005802
	s_mov_b32 s56, 0x410                                       // 000000008FE4: BEB800FF 00000410
	v_add_u32_e32 v2, s56, v2                                  // 000000008FEC: 68040438
	ds_write_b128 v2, v[92:95]                                 // 000000008FF0: D9BE0000 00005C02
	s_mov_b32 s56, 0x410                                       // 000000008FF8: BEB800FF 00000410
	v_add_u32_e32 v2, s56, v2                                  // 000000009000: 68040438
	ds_write_b128 v2, v[96:99]                                 // 000000009004: D9BE0000 00006002
	s_mov_b32 s56, 0x410                                       // 00000000900C: BEB800FF 00000410
	v_add_u32_e32 v2, s56, v2                                  // 000000009014: 68040438
	ds_write_b128 v2, v[100:103]                               // 000000009018: D9BE0000 00006402
	s_mov_b32 s56, 0x410                                       // 000000009020: BEB800FF 00000410
	v_add_u32_e32 v2, s56, v2                                  // 000000009028: 68040438
	ds_write_b128 v2, v[104:107]                               // 00000000902C: D9BE0000 00006802
	s_mov_b32 s56, 0x410                                       // 000000009034: BEB800FF 00000410
	v_add_u32_e32 v2, s56, v2                                  // 00000000903C: 68040438
	ds_write_b128 v2, v[108:111]                               // 000000009040: D9BE0000 00006C02
	s_mov_b32 s56, 0x410                                       // 000000009048: BEB800FF 00000410
	v_add_u32_e32 v2, s56, v2                                  // 000000009050: 68040438
	ds_write_b128 v2, v[112:115]                               // 000000009054: D9BE0000 00007002
	s_mov_b32 s56, 0x410                                       // 00000000905C: BEB800FF 00000410
	v_add_u32_e32 v2, s56, v2                                  // 000000009064: 68040438
	ds_write_b128 v2, v[116:119]                               // 000000009068: D9BE0000 00007402
	s_mov_b32 s56, 0x410                                       // 000000009070: BEB800FF 00000410
	v_add_u32_e32 v2, s56, v2                                  // 000000009078: 68040438
	ds_write_b128 v2, v[120:123]                               // 00000000907C: D9BE0000 00007802
	s_mov_b32 s56, 0x410                                       // 000000009084: BEB800FF 00000410
	v_add_u32_e32 v2, s56, v2                                  // 00000000908C: 68040438
	ds_write_b128 v2, v[124:127]                               // 000000009090: D9BE0000 00007C02
	s_mov_b32 s56, 0x410                                       // 000000009098: BEB800FF 00000410
	v_add_u32_e32 v2, s56, v2                                  // 0000000090A0: 68040438
	ds_write_b128 v2, v[128:131]                               // 0000000090A4: D9BE0000 00008002
	s_mov_b32 s56, 0x410                                       // 0000000090AC: BEB800FF 00000410
	v_add_u32_e32 v2, s56, v2                                  // 0000000090B4: 68040438
	ds_write_b128 v2, v[132:135]                               // 0000000090B8: D9BE0000 00008402
	s_mov_b32 s56, 0x410                                       // 0000000090C0: BEB800FF 00000410
	v_add_u32_e32 v2, s56, v2                                  // 0000000090C8: 68040438
	ds_write_b128 v2, v[136:139]                               // 0000000090CC: D9BE0000 00008802
	s_mov_b32 s56, 0x410                                       // 0000000090D4: BEB800FF 00000410
	v_add_u32_e32 v2, s56, v2                                  // 0000000090DC: 68040438
	ds_write_b128 v2, v[140:143]                               // 0000000090E0: D9BE0000 00008C02
	s_mov_b32 s56, 0x410                                       // 0000000090E8: BEB800FF 00000410
	v_add_u32_e32 v2, s56, v2                                  // 0000000090F0: 68040438
	ds_write_b128 v2, v[144:147]                               // 0000000090F4: D9BE0000 00009002
	s_mov_b32 s56, 0x410                                       // 0000000090FC: BEB800FF 00000410
	v_add_u32_e32 v2, s56, v2                                  // 000000009104: 68040438
	ds_write_b128 v2, v[148:151]                               // 000000009108: D9BE0000 00009402
	s_mov_b32 s56, 0x410                                       // 000000009110: BEB800FF 00000410
	v_add_u32_e32 v2, s56, v2                                  // 000000009118: 68040438
	ds_write_b128 v2, v[152:155]                               // 00000000911C: D9BE0000 00009802
	s_mov_b32 s56, 0x410                                       // 000000009124: BEB800FF 00000410
	v_add_u32_e32 v2, s56, v2                                  // 00000000912C: 68040438
	ds_write_b128 v2, v[156:159]                               // 000000009130: D9BE0000 00009C02
	s_mov_b32 s56, 0x410                                       // 000000009138: BEB800FF 00000410
	v_add_u32_e32 v2, s56, v2                                  // 000000009140: 68040438
	ds_write_b128 v2, v[160:163]                               // 000000009144: D9BE0000 0000A002
	s_mov_b32 s56, 0x410                                       // 00000000914C: BEB800FF 00000410
	v_add_u32_e32 v2, s56, v2                                  // 000000009154: 68040438
	ds_write_b128 v2, v[164:167]                               // 000000009158: D9BE0000 0000A402
	s_mov_b32 s56, 0x410                                       // 000000009160: BEB800FF 00000410
	v_add_u32_e32 v2, s56, v2                                  // 000000009168: 68040438
	ds_write_b128 v2, v[168:171]                               // 00000000916C: D9BE0000 0000A802
	s_mov_b32 s56, 0x410                                       // 000000009174: BEB800FF 00000410
	v_add_u32_e32 v2, s56, v2                                  // 00000000917C: 68040438
	ds_write_b128 v2, v[172:175]                               // 000000009180: D9BE0000 0000AC02
	s_mov_b32 s56, 0x410                                       // 000000009188: BEB800FF 00000410
	v_add_u32_e32 v2, s56, v2                                  // 000000009190: 68040438
	ds_write_b128 v2, v[176:179]                               // 000000009194: D9BE0000 0000B002
	s_mov_b32 s56, 0x410                                       // 00000000919C: BEB800FF 00000410
	v_add_u32_e32 v2, s56, v2                                  // 0000000091A4: 68040438
	v_lshrrev_b32_e32 v27, 1, v0                               // 0000000091A8: 20360081
	s_mov_b32 s56, 0x410                                       // 0000000091AC: BEB800FF 00000410
	v_mul_i32_i24_e32 v27, s56, v27                            // 0000000091B4: 0C363638
	v_and_b32_e32 v28, 1, v0                                   // 0000000091B8: 26380081
	s_mov_b32 s57, 0x200                                       // 0000000091BC: BEB900FF 00000200
	v_mul_i32_i24_e32 v28, s57, v28                            // 0000000091C4: 0C383839
	v_add_u32_e32 v2, v27, v28                                 // 0000000091C8: 6804391B
	s_mov_b32 s57, 0x9000                                      // 0000000091CC: BEB900FF 00009000
	s_mul_i32 s56, s57, s7                                     // 0000000091D4: 92380739
	v_add_u32_e32 v2, s56, v2                                  // 0000000091D8: 68040438
	s_lshr_b32 s56, s7, 1                                      // 0000000091DC: 8F388107
	s_mov_b32 s57, 0x10000                                     // 0000000091E0: BEB900FF 00010000
	s_mul_i32 s56, s56, s57                                    // 0000000091E8: 92383938
	s_and_b32 s57, 1, s7                                       // 0000000091EC: 86390781
	s_lshl_b32 s57, s57, 10                                    // 0000000091F0: 8E398A39
	s_add_i32 s56, s56, s57                                    // 0000000091F4: 81383938
	v_lshlrev_b32_e32 v5, 4, v0                                // 0000000091F8: 240A0084
	v_add_u32_e32 v5, s56, v5                                  // 0000000091FC: 680A0A38
	s_waitcnt lgkmcnt(0)                                       // 000000009200: BF8CC07F
	ds_read_b128 v[52:55], v2                                  // 000000009204: D9FE0000 34000002
	ds_read_b128 v[56:59], v2 offset:16                        // 00000000920C: D9FE0010 38000002
	s_waitcnt lgkmcnt(1)                                       // 000000009214: BF8CC17F
	buffer_store_dwordx4 v[52:55], v5, s[8:11], 0 offen        // 000000009218: E07C1000 80023405
	v_add_u32_e32 v5, 0x800, v5                                // 000000009220: 680A0AFF 00000800
	ds_read_b128 v[60:63], v2 offset:32                        // 000000009228: D9FE0020 3C000002
	s_waitcnt lgkmcnt(1)                                       // 000000009230: BF8CC17F
	buffer_store_dwordx4 v[56:59], v5, s[8:11], 0 offen        // 000000009234: E07C1000 80023805
	v_add_u32_e32 v5, 0x800, v5                                // 00000000923C: 680A0AFF 00000800
	ds_read_b128 v[64:67], v2 offset:48                        // 000000009244: D9FE0030 40000002
	s_waitcnt lgkmcnt(1)                                       // 00000000924C: BF8CC17F
	buffer_store_dwordx4 v[60:63], v5, s[8:11], 0 offen        // 000000009250: E07C1000 80023C05
	v_add_u32_e32 v5, 0x800, v5                                // 000000009258: 680A0AFF 00000800
	s_waitcnt lgkmcnt(0)                                       // 000000009260: BF8CC07F
	buffer_store_dwordx4 v[64:67], v5, s[8:11], 0 offen        // 000000009264: E07C1000 80024005
	v_add_u32_e32 v5, 0x800, v5                                // 00000000926C: 680A0AFF 00000800
	ds_read_b128 v[68:71], v2 offset:64                        // 000000009274: D9FE0040 44000002
	ds_read_b128 v[72:75], v2 offset:80                        // 00000000927C: D9FE0050 48000002
	s_waitcnt lgkmcnt(1)                                       // 000000009284: BF8CC17F
	buffer_store_dwordx4 v[68:71], v5, s[8:11], 0 offen        // 000000009288: E07C1000 80024405
	v_add_u32_e32 v5, 0x800, v5                                // 000000009290: 680A0AFF 00000800
	ds_read_b128 v[76:79], v2 offset:96                        // 000000009298: D9FE0060 4C000002
	s_waitcnt lgkmcnt(1)                                       // 0000000092A0: BF8CC17F
	buffer_store_dwordx4 v[72:75], v5, s[8:11], 0 offen        // 0000000092A4: E07C1000 80024805
	v_add_u32_e32 v5, 0x800, v5                                // 0000000092AC: 680A0AFF 00000800
	ds_read_b128 v[80:83], v2 offset:112                       // 0000000092B4: D9FE0070 50000002
	s_waitcnt lgkmcnt(1)                                       // 0000000092BC: BF8CC17F
	buffer_store_dwordx4 v[76:79], v5, s[8:11], 0 offen        // 0000000092C0: E07C1000 80024C05
	v_add_u32_e32 v5, 0x800, v5                                // 0000000092C8: 680A0AFF 00000800
	s_waitcnt lgkmcnt(0)                                       // 0000000092D0: BF8CC07F
	buffer_store_dwordx4 v[80:83], v5, s[8:11], 0 offen        // 0000000092D4: E07C1000 80025005
	v_add_u32_e32 v5, 0x800, v5                                // 0000000092DC: 680A0AFF 00000800
	ds_read_b128 v[84:87], v2 offset:128                       // 0000000092E4: D9FE0080 54000002
	ds_read_b128 v[88:91], v2 offset:144                       // 0000000092EC: D9FE0090 58000002
	s_waitcnt lgkmcnt(1)                                       // 0000000092F4: BF8CC17F
	buffer_store_dwordx4 v[84:87], v5, s[8:11], 0 offen        // 0000000092F8: E07C1000 80025405
	v_add_u32_e32 v5, 0x800, v5                                // 000000009300: 680A0AFF 00000800
	ds_read_b128 v[92:95], v2 offset:160                       // 000000009308: D9FE00A0 5C000002
	s_waitcnt lgkmcnt(1)                                       // 000000009310: BF8CC17F
	buffer_store_dwordx4 v[88:91], v5, s[8:11], 0 offen        // 000000009314: E07C1000 80025805
	v_add_u32_e32 v5, 0x800, v5                                // 00000000931C: 680A0AFF 00000800
	ds_read_b128 v[96:99], v2 offset:176                       // 000000009324: D9FE00B0 60000002
	s_waitcnt lgkmcnt(1)                                       // 00000000932C: BF8CC17F
	buffer_store_dwordx4 v[92:95], v5, s[8:11], 0 offen        // 000000009330: E07C1000 80025C05
	v_add_u32_e32 v5, 0x800, v5                                // 000000009338: 680A0AFF 00000800
	s_waitcnt lgkmcnt(0)                                       // 000000009340: BF8CC07F
	buffer_store_dwordx4 v[96:99], v5, s[8:11], 0 offen        // 000000009344: E07C1000 80026005
	v_add_u32_e32 v5, 0x800, v5                                // 00000000934C: 680A0AFF 00000800
	ds_read_b128 v[100:103], v2 offset:192                     // 000000009354: D9FE00C0 64000002
	ds_read_b128 v[104:107], v2 offset:208                     // 00000000935C: D9FE00D0 68000002
	s_waitcnt lgkmcnt(1)                                       // 000000009364: BF8CC17F
	buffer_store_dwordx4 v[100:103], v5, s[8:11], 0 offen      // 000000009368: E07C1000 80026405
	v_add_u32_e32 v5, 0x800, v5                                // 000000009370: 680A0AFF 00000800
	ds_read_b128 v[108:111], v2 offset:224                     // 000000009378: D9FE00E0 6C000002
	s_waitcnt lgkmcnt(1)                                       // 000000009380: BF8CC17F
	buffer_store_dwordx4 v[104:107], v5, s[8:11], 0 offen      // 000000009384: E07C1000 80026805
	v_add_u32_e32 v5, 0x800, v5                                // 00000000938C: 680A0AFF 00000800
	ds_read_b128 v[112:115], v2 offset:240                     // 000000009394: D9FE00F0 70000002
	s_waitcnt lgkmcnt(1)                                       // 00000000939C: BF8CC17F
	buffer_store_dwordx4 v[108:111], v5, s[8:11], 0 offen      // 0000000093A0: E07C1000 80026C05
	v_add_u32_e32 v5, 0x800, v5                                // 0000000093A8: 680A0AFF 00000800
	s_waitcnt lgkmcnt(0)                                       // 0000000093B0: BF8CC07F
	buffer_store_dwordx4 v[112:115], v5, s[8:11], 0 offen      // 0000000093B4: E07C1000 80027005
	v_add_u32_e32 v5, 0x800, v5                                // 0000000093BC: 680A0AFF 00000800
	ds_read_b128 v[116:119], v2 offset:256                     // 0000000093C4: D9FE0100 74000002
	ds_read_b128 v[120:123], v2 offset:272                     // 0000000093CC: D9FE0110 78000002
	s_waitcnt lgkmcnt(1)                                       // 0000000093D4: BF8CC17F
	buffer_store_dwordx4 v[116:119], v5, s[8:11], 0 offen      // 0000000093D8: E07C1000 80027405
	v_add_u32_e32 v5, 0x800, v5                                // 0000000093E0: 680A0AFF 00000800
	ds_read_b128 v[124:127], v2 offset:288                     // 0000000093E8: D9FE0120 7C000002
	s_waitcnt lgkmcnt(1)                                       // 0000000093F0: BF8CC17F
	buffer_store_dwordx4 v[120:123], v5, s[8:11], 0 offen      // 0000000093F4: E07C1000 80027805
	v_add_u32_e32 v5, 0x800, v5                                // 0000000093FC: 680A0AFF 00000800
	ds_read_b128 v[128:131], v2 offset:304                     // 000000009404: D9FE0130 80000002
	s_waitcnt lgkmcnt(1)                                       // 00000000940C: BF8CC17F
	buffer_store_dwordx4 v[124:127], v5, s[8:11], 0 offen      // 000000009410: E07C1000 80027C05
	v_add_u32_e32 v5, 0x800, v5                                // 000000009418: 680A0AFF 00000800
	s_waitcnt lgkmcnt(0)                                       // 000000009420: BF8CC07F
	buffer_store_dwordx4 v[128:131], v5, s[8:11], 0 offen      // 000000009424: E07C1000 80028005
	v_add_u32_e32 v5, 0x800, v5                                // 00000000942C: 680A0AFF 00000800
	ds_read_b128 v[132:135], v2 offset:320                     // 000000009434: D9FE0140 84000002
	ds_read_b128 v[136:139], v2 offset:336                     // 00000000943C: D9FE0150 88000002
	s_waitcnt lgkmcnt(1)                                       // 000000009444: BF8CC17F
	buffer_store_dwordx4 v[132:135], v5, s[8:11], 0 offen      // 000000009448: E07C1000 80028405
	v_add_u32_e32 v5, 0x800, v5                                // 000000009450: 680A0AFF 00000800
	ds_read_b128 v[140:143], v2 offset:352                     // 000000009458: D9FE0160 8C000002
	s_waitcnt lgkmcnt(1)                                       // 000000009460: BF8CC17F
	buffer_store_dwordx4 v[136:139], v5, s[8:11], 0 offen      // 000000009464: E07C1000 80028805
	v_add_u32_e32 v5, 0x800, v5                                // 00000000946C: 680A0AFF 00000800
	ds_read_b128 v[144:147], v2 offset:368                     // 000000009474: D9FE0170 90000002
	s_waitcnt lgkmcnt(1)                                       // 00000000947C: BF8CC17F
	buffer_store_dwordx4 v[140:143], v5, s[8:11], 0 offen      // 000000009480: E07C1000 80028C05
	v_add_u32_e32 v5, 0x800, v5                                // 000000009488: 680A0AFF 00000800
	s_waitcnt lgkmcnt(0)                                       // 000000009490: BF8CC07F
	buffer_store_dwordx4 v[144:147], v5, s[8:11], 0 offen      // 000000009494: E07C1000 80029005
	v_add_u32_e32 v5, 0x800, v5                                // 00000000949C: 680A0AFF 00000800
	ds_read_b128 v[148:151], v2 offset:384                     // 0000000094A4: D9FE0180 94000002
	ds_read_b128 v[152:155], v2 offset:400                     // 0000000094AC: D9FE0190 98000002
	s_waitcnt lgkmcnt(1)                                       // 0000000094B4: BF8CC17F
	buffer_store_dwordx4 v[148:151], v5, s[8:11], 0 offen      // 0000000094B8: E07C1000 80029405
	v_add_u32_e32 v5, 0x800, v5                                // 0000000094C0: 680A0AFF 00000800
	ds_read_b128 v[156:159], v2 offset:416                     // 0000000094C8: D9FE01A0 9C000002
	s_waitcnt lgkmcnt(1)                                       // 0000000094D0: BF8CC17F
	buffer_store_dwordx4 v[152:155], v5, s[8:11], 0 offen      // 0000000094D4: E07C1000 80029805
	v_add_u32_e32 v5, 0x800, v5                                // 0000000094DC: 680A0AFF 00000800
	ds_read_b128 v[160:163], v2 offset:432                     // 0000000094E4: D9FE01B0 A0000002
	s_waitcnt lgkmcnt(1)                                       // 0000000094EC: BF8CC17F
	buffer_store_dwordx4 v[156:159], v5, s[8:11], 0 offen      // 0000000094F0: E07C1000 80029C05
	v_add_u32_e32 v5, 0x800, v5                                // 0000000094F8: 680A0AFF 00000800
	s_waitcnt lgkmcnt(0)                                       // 000000009500: BF8CC07F
	buffer_store_dwordx4 v[160:163], v5, s[8:11], 0 offen      // 000000009504: E07C1000 8002A005
	v_add_u32_e32 v5, 0x800, v5                                // 00000000950C: 680A0AFF 00000800
	ds_read_b128 v[164:167], v2 offset:448                     // 000000009514: D9FE01C0 A4000002
	ds_read_b128 v[168:171], v2 offset:464                     // 00000000951C: D9FE01D0 A8000002
	s_waitcnt lgkmcnt(1)                                       // 000000009524: BF8CC17F
	buffer_store_dwordx4 v[164:167], v5, s[8:11], 0 offen      // 000000009528: E07C1000 8002A405
	v_add_u32_e32 v5, 0x800, v5                                // 000000009530: 680A0AFF 00000800
	ds_read_b128 v[172:175], v2 offset:480                     // 000000009538: D9FE01E0 AC000002
	s_waitcnt lgkmcnt(1)                                       // 000000009540: BF8CC17F
	buffer_store_dwordx4 v[168:171], v5, s[8:11], 0 offen      // 000000009544: E07C1000 8002A805
	v_add_u32_e32 v5, 0x800, v5                                // 00000000954C: 680A0AFF 00000800
	ds_read_b128 v[176:179], v2 offset:496                     // 000000009554: D9FE01F0 B0000002
	s_waitcnt lgkmcnt(1)                                       // 00000000955C: BF8CC17F
	buffer_store_dwordx4 v[172:175], v5, s[8:11], 0 offen      // 000000009560: E07C1000 8002AC05
	v_add_u32_e32 v5, 0x800, v5                                // 000000009568: 680A0AFF 00000800
	s_waitcnt lgkmcnt(0)                                       // 000000009570: BF8CC07F
	buffer_store_dwordx4 v[176:179], v5, s[8:11], 0 offen      // 000000009574: E07C1000 8002B005
	v_add_u32_e32 v5, 0x800, v5                                // 00000000957C: 680A0AFF 00000800
	buffer_store_dword v1, v4, s[12:15], 0 offen               // 000000009584: E0701000 80030104
	s_branch label_7B58                                        // 00000000958C: BF8201F0

0000000000009590 <label_7398>:
	s_mul_i32 s56, 0x800, 16                                   // 000000009590: 923890FF 00000800
	s_mul_i32 s57, 0x400, 16                                   // 000000009598: 923990FF 00000400
	s_cmp_eq_u32 s67, 1                                        // 0000000095A0: BF068143
	s_cselect_b32 s75, s57, s56                                // 0000000095A4: 854B3839
	s_mul_i32 s94, s67, s75                                    // 0000000095A8: 925E4B43
	s_mul_i32 s93, s92, s75                                    // 0000000095AC: 925D4B5C
	s_mul_i32 s56, s79, s93                                    // 0000000095B0: 92385D4F
	s_mul_i32 s57, s79, s75                                    // 0000000095B4: 92394B4F
	s_cmp_eq_u32 s67, 1                                        // 0000000095B8: BF068143
	s_cselect_b32 s56, s57, s56                                // 0000000095BC: 85383839
	s_add_u32 s8, s56, s8                                      // 0000000095C0: 80080838
	s_addc_u32 s9, 0, s9                                       // 0000000095C4: 82090980
	s_mul_i32 s56, s93, s81                                    // 0000000095C8: 9238515D
	s_mov_b32 s10, s56                                         // 0000000095CC: BE8A0038
	s_mul_i32 s56, s93, s7                                     // 0000000095D0: 9238075D
	v_lshrrev_b32_e32 v27, 5, v0                               // 0000000095D4: 20360085
	s_mov_b32 s57, 0x800                                       // 0000000095D8: BEB900FF 00000800
	v_mul_i32_i24_e32 v27, s57, v27                            // 0000000095E0: 0C363639
	v_and_b32_e32 v5, 31, v0                                   // 0000000095E4: 260A009F
	v_lshlrev_b32_e32 v5, 4, v5                                // 0000000095E8: 240A0A84
	v_add_u32_e32 v5, v5, v27                                  // 0000000095EC: 680A3705
	v_add_u32_e64 v5, v5, s56                                  // 0000000095F0: D1340005 00007105
	s_mul_i32 s56, s4, s75                                     // 0000000095F8: 92384B04
	v_add_u32_e64 v5, v5, s56                                  // 0000000095FC: D1340005 00007105
	v_lshlrev_b32_e32 v2, 3, v0                                // 000000009604: 24040083
	s_mov_b32 s56, 0x5000                                      // 000000009608: BEB800FF 00005000
	s_mul_i32 s56, s7, s56                                     // 000000009610: 92383807
	v_add_u32_e32 v2, s56, v2                                  // 000000009614: 68040438
	v_cvt_pk_bf16_f32 v52, v52, v53                            // 000000009618: D2680034 00026B34
	v_cvt_pk_bf16_f32 v53, v54, v55                            // 000000009620: D2680035 00026F36
	v_cvt_pk_bf16_f32 v54, v56, v57                            // 000000009628: D2680036 00027338
	v_cvt_pk_bf16_f32 v55, v58, v59                            // 000000009630: D2680037 0002773A
	v_cvt_pk_bf16_f32 v56, v60, v61                            // 000000009638: D2680038 00027B3C
	v_cvt_pk_bf16_f32 v57, v62, v63                            // 000000009640: D2680039 00027F3E
	v_cvt_pk_bf16_f32 v58, v64, v65                            // 000000009648: D268003A 00028340
	v_cvt_pk_bf16_f32 v59, v66, v67                            // 000000009650: D268003B 00028742
	v_cvt_pk_bf16_f32 v60, v68, v69                            // 000000009658: D268003C 00028B44
	v_cvt_pk_bf16_f32 v61, v70, v71                            // 000000009660: D268003D 00028F46
	v_cvt_pk_bf16_f32 v62, v72, v73                            // 000000009668: D268003E 00029348
	v_cvt_pk_bf16_f32 v63, v74, v75                            // 000000009670: D268003F 0002974A
	v_cvt_pk_bf16_f32 v64, v76, v77                            // 000000009678: D2680040 00029B4C
	v_cvt_pk_bf16_f32 v65, v78, v79                            // 000000009680: D2680041 00029F4E
	v_cvt_pk_bf16_f32 v66, v80, v81                            // 000000009688: D2680042 0002A350
	v_cvt_pk_bf16_f32 v67, v82, v83                            // 000000009690: D2680043 0002A752
	ds_write_b64 v2, v[52:53]                                  // 000000009698: D89A0000 00003402
	s_mov_b32 s56, 0x208                                       // 0000000096A0: BEB800FF 00000208
	v_add_u32_e32 v2, s56, v2                                  // 0000000096A8: 68040438
	ds_write_b64 v2, v[54:55]                                  // 0000000096AC: D89A0000 00003602
	s_mov_b32 s56, 0x208                                       // 0000000096B4: BEB800FF 00000208
	v_add_u32_e32 v2, s56, v2                                  // 0000000096BC: 68040438
	ds_write_b64 v2, v[56:57]                                  // 0000000096C0: D89A0000 00003802
	s_mov_b32 s56, 0x208                                       // 0000000096C8: BEB800FF 00000208
	v_add_u32_e32 v2, s56, v2                                  // 0000000096D0: 68040438
	ds_write_b64 v2, v[58:59]                                  // 0000000096D4: D89A0000 00003A02
	s_mov_b32 s56, 0x208                                       // 0000000096DC: BEB800FF 00000208
	v_add_u32_e32 v2, s56, v2                                  // 0000000096E4: 68040438
	ds_write_b64 v2, v[60:61]                                  // 0000000096E8: D89A0000 00003C02
	s_mov_b32 s56, 0x208                                       // 0000000096F0: BEB800FF 00000208
	v_add_u32_e32 v2, s56, v2                                  // 0000000096F8: 68040438
	ds_write_b64 v2, v[62:63]                                  // 0000000096FC: D89A0000 00003E02
	s_mov_b32 s56, 0x208                                       // 000000009704: BEB800FF 00000208
	v_add_u32_e32 v2, s56, v2                                  // 00000000970C: 68040438
	ds_write_b64 v2, v[64:65]                                  // 000000009710: D89A0000 00004002
	s_mov_b32 s56, 0x208                                       // 000000009718: BEB800FF 00000208
	v_add_u32_e32 v2, s56, v2                                  // 000000009720: 68040438
	ds_write_b64 v2, v[66:67]                                  // 000000009724: D89A0000 00004202
	s_mov_b32 s56, 0x208                                       // 00000000972C: BEB800FF 00000208
	v_add_u32_e32 v2, s56, v2                                  // 000000009734: 68040438
	v_cvt_pk_bf16_f32 v52, v84, v85                            // 000000009738: D2680034 0002AB54
	v_cvt_pk_bf16_f32 v53, v86, v87                            // 000000009740: D2680035 0002AF56
	v_cvt_pk_bf16_f32 v54, v88, v89                            // 000000009748: D2680036 0002B358
	v_cvt_pk_bf16_f32 v55, v90, v91                            // 000000009750: D2680037 0002B75A
	v_cvt_pk_bf16_f32 v56, v92, v93                            // 000000009758: D2680038 0002BB5C
	v_cvt_pk_bf16_f32 v57, v94, v95                            // 000000009760: D2680039 0002BF5E
	v_cvt_pk_bf16_f32 v58, v96, v97                            // 000000009768: D268003A 0002C360
	v_cvt_pk_bf16_f32 v59, v98, v99                            // 000000009770: D268003B 0002C762
	v_cvt_pk_bf16_f32 v60, v100, v101                          // 000000009778: D268003C 0002CB64
	v_cvt_pk_bf16_f32 v61, v102, v103                          // 000000009780: D268003D 0002CF66
	v_cvt_pk_bf16_f32 v62, v104, v105                          // 000000009788: D268003E 0002D368
	v_cvt_pk_bf16_f32 v63, v106, v107                          // 000000009790: D268003F 0002D76A
	v_cvt_pk_bf16_f32 v64, v108, v109                          // 000000009798: D2680040 0002DB6C
	v_cvt_pk_bf16_f32 v65, v110, v111                          // 0000000097A0: D2680041 0002DF6E
	v_cvt_pk_bf16_f32 v66, v112, v113                          // 0000000097A8: D2680042 0002E370
	v_cvt_pk_bf16_f32 v67, v114, v115                          // 0000000097B0: D2680043 0002E772
	ds_write_b64 v2, v[52:53]                                  // 0000000097B8: D89A0000 00003402
	s_mov_b32 s56, 0x208                                       // 0000000097C0: BEB800FF 00000208
	v_add_u32_e32 v2, s56, v2                                  // 0000000097C8: 68040438
	ds_write_b64 v2, v[54:55]                                  // 0000000097CC: D89A0000 00003602
	s_mov_b32 s56, 0x208                                       // 0000000097D4: BEB800FF 00000208
	v_add_u32_e32 v2, s56, v2                                  // 0000000097DC: 68040438
	ds_write_b64 v2, v[56:57]                                  // 0000000097E0: D89A0000 00003802
	s_mov_b32 s56, 0x208                                       // 0000000097E8: BEB800FF 00000208
	v_add_u32_e32 v2, s56, v2                                  // 0000000097F0: 68040438
	ds_write_b64 v2, v[58:59]                                  // 0000000097F4: D89A0000 00003A02
	s_mov_b32 s56, 0x208                                       // 0000000097FC: BEB800FF 00000208
	v_add_u32_e32 v2, s56, v2                                  // 000000009804: 68040438
	ds_write_b64 v2, v[60:61]                                  // 000000009808: D89A0000 00003C02
	s_mov_b32 s56, 0x208                                       // 000000009810: BEB800FF 00000208
	v_add_u32_e32 v2, s56, v2                                  // 000000009818: 68040438
	ds_write_b64 v2, v[62:63]                                  // 00000000981C: D89A0000 00003E02
	s_mov_b32 s56, 0x208                                       // 000000009824: BEB800FF 00000208
	v_add_u32_e32 v2, s56, v2                                  // 00000000982C: 68040438
	ds_write_b64 v2, v[64:65]                                  // 000000009830: D89A0000 00004002
	s_mov_b32 s56, 0x208                                       // 000000009838: BEB800FF 00000208
	v_add_u32_e32 v2, s56, v2                                  // 000000009840: 68040438
	ds_write_b64 v2, v[66:67]                                  // 000000009844: D89A0000 00004202
	s_mov_b32 s56, 0x208                                       // 00000000984C: BEB800FF 00000208
	v_add_u32_e32 v2, s56, v2                                  // 000000009854: 68040438
	v_cvt_pk_bf16_f32 v52, v116, v117                          // 000000009858: D2680034 0002EB74
	v_cvt_pk_bf16_f32 v53, v118, v119                          // 000000009860: D2680035 0002EF76
	v_cvt_pk_bf16_f32 v54, v120, v121                          // 000000009868: D2680036 0002F378
	v_cvt_pk_bf16_f32 v55, v122, v123                          // 000000009870: D2680037 0002F77A
	v_cvt_pk_bf16_f32 v56, v124, v125                          // 000000009878: D2680038 0002FB7C
	v_cvt_pk_bf16_f32 v57, v126, v127                          // 000000009880: D2680039 0002FF7E
	v_cvt_pk_bf16_f32 v58, v128, v129                          // 000000009888: D268003A 00030380
	v_cvt_pk_bf16_f32 v59, v130, v131                          // 000000009890: D268003B 00030782
	v_cvt_pk_bf16_f32 v60, v132, v133                          // 000000009898: D268003C 00030B84
	v_cvt_pk_bf16_f32 v61, v134, v135                          // 0000000098A0: D268003D 00030F86
	v_cvt_pk_bf16_f32 v62, v136, v137                          // 0000000098A8: D268003E 00031388
	v_cvt_pk_bf16_f32 v63, v138, v139                          // 0000000098B0: D268003F 0003178A
	v_cvt_pk_bf16_f32 v64, v140, v141                          // 0000000098B8: D2680040 00031B8C
	v_cvt_pk_bf16_f32 v65, v142, v143                          // 0000000098C0: D2680041 00031F8E
	v_cvt_pk_bf16_f32 v66, v144, v145                          // 0000000098C8: D2680042 00032390
	v_cvt_pk_bf16_f32 v67, v146, v147                          // 0000000098D0: D2680043 00032792
	ds_write_b64 v2, v[52:53]                                  // 0000000098D8: D89A0000 00003402
	s_mov_b32 s56, 0x208                                       // 0000000098E0: BEB800FF 00000208
	v_add_u32_e32 v2, s56, v2                                  // 0000000098E8: 68040438
	ds_write_b64 v2, v[54:55]                                  // 0000000098EC: D89A0000 00003602
	s_mov_b32 s56, 0x208                                       // 0000000098F4: BEB800FF 00000208
	v_add_u32_e32 v2, s56, v2                                  // 0000000098FC: 68040438
	ds_write_b64 v2, v[56:57]                                  // 000000009900: D89A0000 00003802
	s_mov_b32 s56, 0x208                                       // 000000009908: BEB800FF 00000208
	v_add_u32_e32 v2, s56, v2                                  // 000000009910: 68040438
	ds_write_b64 v2, v[58:59]                                  // 000000009914: D89A0000 00003A02
	s_mov_b32 s56, 0x208                                       // 00000000991C: BEB800FF 00000208
	v_add_u32_e32 v2, s56, v2                                  // 000000009924: 68040438
	ds_write_b64 v2, v[60:61]                                  // 000000009928: D89A0000 00003C02
	s_mov_b32 s56, 0x208                                       // 000000009930: BEB800FF 00000208
	v_add_u32_e32 v2, s56, v2                                  // 000000009938: 68040438
	ds_write_b64 v2, v[62:63]                                  // 00000000993C: D89A0000 00003E02
	s_mov_b32 s56, 0x208                                       // 000000009944: BEB800FF 00000208
	v_add_u32_e32 v2, s56, v2                                  // 00000000994C: 68040438
	ds_write_b64 v2, v[64:65]                                  // 000000009950: D89A0000 00004002
	s_mov_b32 s56, 0x208                                       // 000000009958: BEB800FF 00000208
	v_add_u32_e32 v2, s56, v2                                  // 000000009960: 68040438
	ds_write_b64 v2, v[66:67]                                  // 000000009964: D89A0000 00004202
	s_mov_b32 s56, 0x208                                       // 00000000996C: BEB800FF 00000208
	v_add_u32_e32 v2, s56, v2                                  // 000000009974: 68040438
	v_cvt_pk_bf16_f32 v52, v148, v149                          // 000000009978: D2680034 00032B94
	v_cvt_pk_bf16_f32 v53, v150, v151                          // 000000009980: D2680035 00032F96
	v_cvt_pk_bf16_f32 v54, v152, v153                          // 000000009988: D2680036 00033398
	v_cvt_pk_bf16_f32 v55, v154, v155                          // 000000009990: D2680037 0003379A
	v_cvt_pk_bf16_f32 v56, v156, v157                          // 000000009998: D2680038 00033B9C
	v_cvt_pk_bf16_f32 v57, v158, v159                          // 0000000099A0: D2680039 00033F9E
	v_cvt_pk_bf16_f32 v58, v160, v161                          // 0000000099A8: D268003A 000343A0
	v_cvt_pk_bf16_f32 v59, v162, v163                          // 0000000099B0: D268003B 000347A2
	v_cvt_pk_bf16_f32 v60, v164, v165                          // 0000000099B8: D268003C 00034BA4
	v_cvt_pk_bf16_f32 v61, v166, v167                          // 0000000099C0: D268003D 00034FA6
	v_cvt_pk_bf16_f32 v62, v168, v169                          // 0000000099C8: D268003E 000353A8
	v_cvt_pk_bf16_f32 v63, v170, v171                          // 0000000099D0: D268003F 000357AA
	v_cvt_pk_bf16_f32 v64, v172, v173                          // 0000000099D8: D2680040 00035BAC
	v_cvt_pk_bf16_f32 v65, v174, v175                          // 0000000099E0: D2680041 00035FAE
	v_cvt_pk_bf16_f32 v66, v176, v177                          // 0000000099E8: D2680042 000363B0
	v_cvt_pk_bf16_f32 v67, v178, v179                          // 0000000099F0: D2680043 000367B2
	ds_write_b64 v2, v[52:53]                                  // 0000000099F8: D89A0000 00003402
	s_mov_b32 s56, 0x208                                       // 000000009A00: BEB800FF 00000208
	v_add_u32_e32 v2, s56, v2                                  // 000000009A08: 68040438
	ds_write_b64 v2, v[54:55]                                  // 000000009A0C: D89A0000 00003602
	s_mov_b32 s56, 0x208                                       // 000000009A14: BEB800FF 00000208
	v_add_u32_e32 v2, s56, v2                                  // 000000009A1C: 68040438
	ds_write_b64 v2, v[56:57]                                  // 000000009A20: D89A0000 00003802
	s_mov_b32 s56, 0x208                                       // 000000009A28: BEB800FF 00000208
	v_add_u32_e32 v2, s56, v2                                  // 000000009A30: 68040438
	ds_write_b64 v2, v[58:59]                                  // 000000009A34: D89A0000 00003A02
	s_mov_b32 s56, 0x208                                       // 000000009A3C: BEB800FF 00000208
	v_add_u32_e32 v2, s56, v2                                  // 000000009A44: 68040438
	ds_write_b64 v2, v[60:61]                                  // 000000009A48: D89A0000 00003C02
	s_mov_b32 s56, 0x208                                       // 000000009A50: BEB800FF 00000208
	v_add_u32_e32 v2, s56, v2                                  // 000000009A58: 68040438
	ds_write_b64 v2, v[62:63]                                  // 000000009A5C: D89A0000 00003E02
	s_mov_b32 s56, 0x208                                       // 000000009A64: BEB800FF 00000208
	v_add_u32_e32 v2, s56, v2                                  // 000000009A6C: 68040438
	ds_write_b64 v2, v[64:65]                                  // 000000009A70: D89A0000 00004002
	s_mov_b32 s56, 0x208                                       // 000000009A78: BEB800FF 00000208
	v_add_u32_e32 v2, s56, v2                                  // 000000009A80: 68040438
	ds_write_b64 v2, v[66:67]                                  // 000000009A84: D89A0000 00004202
	s_mov_b32 s56, 0x208                                       // 000000009A8C: BEB800FF 00000208
	v_add_u32_e32 v2, s56, v2                                  // 000000009A94: 68040438
	v_and_b32_e32 v27, 31, v0                                  // 000000009A98: 2636009F
	s_mov_b32 s56, 0x208                                       // 000000009A9C: BEB800FF 00000208
	v_mul_i32_i24_e32 v27, s56, v27                            // 000000009AA4: 0C363638
	v_lshrrev_b32_e32 v28, 5, v0                               // 000000009AA8: 20380085
	s_mov_b32 s56, 8                                           // 000000009AAC: BEB80088
	v_mul_i32_i24_e32 v28, s56, v28                            // 000000009AB0: 0C383838
	v_add_u32_e32 v2, v27, v28                                 // 000000009AB4: 6804391B
	s_mov_b32 s56, 0x100                                       // 000000009AB8: BEB800FF 00000100
	v_add_u32_e32 v3, s56, v2                                  // 000000009AC0: 68060438
	s_mov_b32 s57, 0x5000                                      // 000000009AC4: BEB900FF 00005000
	s_mul_i32 s56, s57, s7                                     // 000000009ACC: 92380739
	v_add_u32_e32 v2, s56, v2                                  // 000000009AD0: 68040438
	v_add_u32_e32 v3, s56, v3                                  // 000000009AD4: 68060638
	s_lshr_b32 s56, s7, 1                                      // 000000009AD8: 8F388107
	s_mov_b32 s57, 0x8000                                      // 000000009ADC: BEB900FF 00008000
	s_mul_i32 s56, s56, s57                                    // 000000009AE4: 92383938
	s_and_b32 s57, 1, s7                                       // 000000009AE8: 86390781
	s_lshl_b32 s57, s57, 9                                     // 000000009AEC: 8E398939
	s_add_i32 s56, s56, s57                                    // 000000009AF0: 81383938
	v_and_b32_e32 v5, 31, v0                                   // 000000009AF4: 260A009F
	v_lshlrev_b32_e32 v5, 4, v5                                // 000000009AF8: 240A0A84
	v_add_u32_e32 v5, s56, v5                                  // 000000009AFC: 680A0A38
	v_lshrrev_b32_e32 v27, 5, v0                               // 000000009B00: 20360085
	v_lshlrev_b32_e32 v27, 10, v27                             // 000000009B04: 2436368A
	v_add_u32_e32 v5, v27, v5                                  // 000000009B08: 680A0B1B
	s_waitcnt lgkmcnt(0)                                       // 000000009B0C: BF8CC07F
	ds_read_b64 v[52:53], v2                                   // 000000009B10: D8EC0000 34000002
	ds_read_b64 v[54:55], v3                                   // 000000009B18: D8EC0000 36000003
	ds_read_b64 v[56:57], v2 offset:16                         // 000000009B20: D8EC0010 38000002
	ds_read_b64 v[58:59], v3 offset:16                         // 000000009B28: D8EC0010 3A000003
	s_waitcnt lgkmcnt(2)                                       // 000000009B30: BF8CC27F
	buffer_store_dwordx4 v[52:55], v5, s[8:11], 0 offen        // 000000009B34: E07C1000 80023405
	v_add_u32_e32 v5, 0x800, v5                                // 000000009B3C: 680A0AFF 00000800
	ds_read_b64 v[60:61], v2 offset:32                         // 000000009B44: D8EC0020 3C000002
	ds_read_b64 v[62:63], v3 offset:32                         // 000000009B4C: D8EC0020 3E000003
	s_waitcnt lgkmcnt(2)                                       // 000000009B54: BF8CC27F
	buffer_store_dwordx4 v[56:59], v5, s[8:11], 0 offen        // 000000009B58: E07C1000 80023805
	v_add_u32_e32 v5, 0x800, v5                                // 000000009B60: 680A0AFF 00000800
	ds_read_b64 v[64:65], v2 offset:48                         // 000000009B68: D8EC0030 40000002
	ds_read_b64 v[66:67], v3 offset:48                         // 000000009B70: D8EC0030 42000003
	s_waitcnt lgkmcnt(2)                                       // 000000009B78: BF8CC27F
	buffer_store_dwordx4 v[60:63], v5, s[8:11], 0 offen        // 000000009B7C: E07C1000 80023C05
	v_add_u32_e32 v5, 0x800, v5                                // 000000009B84: 680A0AFF 00000800
	s_waitcnt lgkmcnt(0)                                       // 000000009B8C: BF8CC07F
	buffer_store_dwordx4 v[64:67], v5, s[8:11], 0 offen        // 000000009B90: E07C1000 80024005
	v_add_u32_e32 v5, 0x800, v5                                // 000000009B98: 680A0AFF 00000800
	ds_read_b64 v[68:69], v2 offset:64                         // 000000009BA0: D8EC0040 44000002
	ds_read_b64 v[70:71], v3 offset:64                         // 000000009BA8: D8EC0040 46000003
	ds_read_b64 v[72:73], v2 offset:80                         // 000000009BB0: D8EC0050 48000002
	ds_read_b64 v[74:75], v3 offset:80                         // 000000009BB8: D8EC0050 4A000003
	s_waitcnt lgkmcnt(2)                                       // 000000009BC0: BF8CC27F
	buffer_store_dwordx4 v[68:71], v5, s[8:11], 0 offen        // 000000009BC4: E07C1000 80024405
	v_add_u32_e32 v5, 0x800, v5                                // 000000009BCC: 680A0AFF 00000800
	ds_read_b64 v[76:77], v2 offset:96                         // 000000009BD4: D8EC0060 4C000002
	ds_read_b64 v[78:79], v3 offset:96                         // 000000009BDC: D8EC0060 4E000003
	s_waitcnt lgkmcnt(2)                                       // 000000009BE4: BF8CC27F
	buffer_store_dwordx4 v[72:75], v5, s[8:11], 0 offen        // 000000009BE8: E07C1000 80024805
	v_add_u32_e32 v5, 0x800, v5                                // 000000009BF0: 680A0AFF 00000800
	ds_read_b64 v[80:81], v2 offset:112                        // 000000009BF8: D8EC0070 50000002
	ds_read_b64 v[82:83], v3 offset:112                        // 000000009C00: D8EC0070 52000003
	s_waitcnt lgkmcnt(2)                                       // 000000009C08: BF8CC27F
	buffer_store_dwordx4 v[76:79], v5, s[8:11], 0 offen        // 000000009C0C: E07C1000 80024C05
	v_add_u32_e32 v5, 0x800, v5                                // 000000009C14: 680A0AFF 00000800
	s_waitcnt lgkmcnt(0)                                       // 000000009C1C: BF8CC07F
	buffer_store_dwordx4 v[80:83], v5, s[8:11], 0 offen        // 000000009C20: E07C1000 80025005
	v_add_u32_e32 v5, 0x800, v5                                // 000000009C28: 680A0AFF 00000800
	ds_read_b64 v[84:85], v2 offset:128                        // 000000009C30: D8EC0080 54000002
	ds_read_b64 v[86:87], v3 offset:128                        // 000000009C38: D8EC0080 56000003
	ds_read_b64 v[88:89], v2 offset:144                        // 000000009C40: D8EC0090 58000002
	ds_read_b64 v[90:91], v3 offset:144                        // 000000009C48: D8EC0090 5A000003
	s_waitcnt lgkmcnt(2)                                       // 000000009C50: BF8CC27F
	buffer_store_dwordx4 v[84:87], v5, s[8:11], 0 offen        // 000000009C54: E07C1000 80025405
	v_add_u32_e32 v5, 0x800, v5                                // 000000009C5C: 680A0AFF 00000800
	ds_read_b64 v[92:93], v2 offset:160                        // 000000009C64: D8EC00A0 5C000002
	ds_read_b64 v[94:95], v3 offset:160                        // 000000009C6C: D8EC00A0 5E000003
	s_waitcnt lgkmcnt(2)                                       // 000000009C74: BF8CC27F
	buffer_store_dwordx4 v[88:91], v5, s[8:11], 0 offen        // 000000009C78: E07C1000 80025805
	v_add_u32_e32 v5, 0x800, v5                                // 000000009C80: 680A0AFF 00000800
	ds_read_b64 v[96:97], v2 offset:176                        // 000000009C88: D8EC00B0 60000002
	ds_read_b64 v[98:99], v3 offset:176                        // 000000009C90: D8EC00B0 62000003
	s_waitcnt lgkmcnt(2)                                       // 000000009C98: BF8CC27F
	buffer_store_dwordx4 v[92:95], v5, s[8:11], 0 offen        // 000000009C9C: E07C1000 80025C05
	v_add_u32_e32 v5, 0x800, v5                                // 000000009CA4: 680A0AFF 00000800
	s_waitcnt lgkmcnt(0)                                       // 000000009CAC: BF8CC07F
	buffer_store_dwordx4 v[96:99], v5, s[8:11], 0 offen        // 000000009CB0: E07C1000 80026005
	v_add_u32_e32 v5, 0x800, v5                                // 000000009CB8: 680A0AFF 00000800
	ds_read_b64 v[100:101], v2 offset:192                      // 000000009CC0: D8EC00C0 64000002
	ds_read_b64 v[102:103], v3 offset:192                      // 000000009CC8: D8EC00C0 66000003
	ds_read_b64 v[104:105], v2 offset:208                      // 000000009CD0: D8EC00D0 68000002
	ds_read_b64 v[106:107], v3 offset:208                      // 000000009CD8: D8EC00D0 6A000003
	s_waitcnt lgkmcnt(2)                                       // 000000009CE0: BF8CC27F
	buffer_store_dwordx4 v[100:103], v5, s[8:11], 0 offen      // 000000009CE4: E07C1000 80026405
	v_add_u32_e32 v5, 0x800, v5                                // 000000009CEC: 680A0AFF 00000800
	ds_read_b64 v[108:109], v2 offset:224                      // 000000009CF4: D8EC00E0 6C000002
	ds_read_b64 v[110:111], v3 offset:224                      // 000000009CFC: D8EC00E0 6E000003
	s_waitcnt lgkmcnt(2)                                       // 000000009D04: BF8CC27F
	buffer_store_dwordx4 v[104:107], v5, s[8:11], 0 offen      // 000000009D08: E07C1000 80026805
	v_add_u32_e32 v5, 0x800, v5                                // 000000009D10: 680A0AFF 00000800
	ds_read_b64 v[112:113], v2 offset:240                      // 000000009D18: D8EC00F0 70000002
	ds_read_b64 v[114:115], v3 offset:240                      // 000000009D20: D8EC00F0 72000003
	s_waitcnt lgkmcnt(2)                                       // 000000009D28: BF8CC27F
	buffer_store_dwordx4 v[108:111], v5, s[8:11], 0 offen      // 000000009D2C: E07C1000 80026C05
	v_add_u32_e32 v5, 0x800, v5                                // 000000009D34: 680A0AFF 00000800
	s_waitcnt lgkmcnt(0)                                       // 000000009D3C: BF8CC07F
	buffer_store_dwordx4 v[112:115], v5, s[8:11], 0 offen      // 000000009D40: E07C1000 80027005
	v_add_u32_e32 v5, 0x800, v5                                // 000000009D48: 680A0AFF 00000800

0000000000009d50 <label_7B58>:
	s_waitcnt vmcnt(0) expcnt(0) lgkmcnt(0)                    // 000000009D50: BF8C0000
	s_endpgm                                                   // 000000009D54: BF810000
